;; amdgpu-corpus repo=zjin-lcf/HeCBench kind=compiled arch=gfx906 opt=O3
	.amdgcn_target "amdgcn-amd-amdhsa--gfx906"
	.amdhsa_code_object_version 6
	.section	.text._Z20test_interval_newtonIdEvP12interval_gpuIT_EPiS2_i,"axG",@progbits,_Z20test_interval_newtonIdEvP12interval_gpuIT_EPiS2_i,comdat
	.protected	_Z20test_interval_newtonIdEvP12interval_gpuIT_EPiS2_i ; -- Begin function _Z20test_interval_newtonIdEvP12interval_gpuIT_EPiS2_i
	.globl	_Z20test_interval_newtonIdEvP12interval_gpuIT_EPiS2_i
	.p2align	8
	.type	_Z20test_interval_newtonIdEvP12interval_gpuIT_EPiS2_i,@function
_Z20test_interval_newtonIdEvP12interval_gpuIT_EPiS2_i: ; @_Z20test_interval_newtonIdEvP12interval_gpuIT_EPiS2_i
; %bb.0:
	s_load_dword s33, s[4:5], 0x20
	s_load_dwordx8 s[12:19], s[4:5], 0x0
	s_add_u32 s0, s0, s7
	s_addc_u32 s1, s1, 0
	v_lshl_add_u32 v8, s6, 6, v0
	s_waitcnt lgkmcnt(0)
	s_cmp_lt_i32 s33, 1
	s_mov_b64 s[8:9], 0
	s_cbranch_scc1 .LBB0_97
; %bb.1:
	s_cmp_eq_u32 s33, 1
	s_cbranch_scc0 .LBB0_98
; %bb.2:
	v_cvt_f64_i32_e32 v[0:1], v8
	s_mov_b32 s4, 0
	s_mov_b32 s5, 0xbef00000
	v_mov_b32_e32 v2, s18
	v_ldexp_f64 v[9:10], -v[0:1], -16
	v_fma_f64 v[11:12], v[0:1], s[4:5], -2.0
	v_mov_b32_e32 v0, s16
	s_mov_b32 s20, 0
	s_brev_b32 s22, 5
	s_brev_b32 s24, 1
	v_mov_b32_e32 v14, -1
	s_mov_b64 s[10:11], 0
	v_mov_b32_e32 v1, s17
	v_mov_b32_e32 v3, s19
	s_mov_b32 s21, 0xfff00000
	s_mov_b32 s23, 0x3eb0c6f7
	;; [unrolled: 1-line block ×3, first 2 shown]
	v_mov_b32_e32 v32, 0x7ff80000
	v_mov_b32_e32 v33, 0
	s_mov_b64 s[26:27], 0
	v_mov_b32_e32 v31, v8
	v_mov_b32_e32 v13, v8
	s_branch .LBB0_4
.LBB0_3:                                ;   in Loop: Header=BB0_4 Depth=1
	s_or_b64 exec, exec, s[4:5]
	s_and_b64 s[4:5], exec, s[6:7]
	s_or_b64 s[10:11], s[4:5], s[10:11]
	s_mov_b64 s[26:27], 0
	s_andn2_b64 exec, exec, s[10:11]
	s_cbranch_execz .LBB0_99
.LBB0_4:                                ; =>This Loop Header: Depth=1
                                        ;     Child Loop BB0_6 Depth 2
	s_waitcnt vmcnt(2)
	v_mov_b32_e32 v18, v1
	s_waitcnt vmcnt(0)
	v_mov_b32_e32 v16, v3
	v_mov_b32_e32 v34, v14
	s_mov_b64 s[30:31], 0
	v_mov_b32_e32 v17, v0
	v_mov_b32_e32 v15, v2
                                        ; implicit-def: $sgpr28_sgpr29
                                        ; implicit-def: $sgpr34_sgpr35
	s_branch .LBB0_6
.LBB0_5:                                ;   in Loop: Header=BB0_6 Depth=2
	s_or_b64 exec, exec, s[4:5]
	s_and_b64 s[4:5], exec, s[6:7]
	s_or_b64 s[30:31], s[4:5], s[30:31]
	s_andn2_b64 s[4:5], s[28:29], exec
	s_and_b64 s[6:7], s[34:35], exec
	s_or_b64 s[28:29], s[4:5], s[6:7]
	s_andn2_b64 exec, exec, s[30:31]
	s_cbranch_execz .LBB0_92
.LBB0_6:                                ;   Parent Loop BB0_4 Depth=1
                                        ; =>  This Inner Loop Header: Depth=2
	v_add_f64 v[21:22], v[17:18], v[15:16]
                                        ; implicit-def: $vgpr2_vgpr3
	v_fma_f64 v[4:5], v[21:22], 0.5, -1.0
	v_cmp_le_f64_e32 vcc, 0, v[4:5]
	v_mul_f64 v[0:1], v[4:5], v[4:5]
	s_and_saveexec_b64 s[4:5], vcc
	s_xor_b64 s[4:5], exec, s[4:5]
; %bb.7:                                ;   in Loop: Header=BB0_6 Depth=2
	v_mul_f64 v[2:3], v[4:5], v[4:5]
                                        ; implicit-def: $vgpr4_vgpr5
                                        ; implicit-def: $vgpr0_vgpr1
; %bb.8:                                ;   in Loop: Header=BB0_6 Depth=2
	s_or_saveexec_b64 s[4:5], s[4:5]
	v_mov_b32_e32 v7, v3
	v_mov_b32_e32 v6, v2
	s_xor_b64 exec, exec, s[4:5]
	s_cbranch_execz .LBB0_10
; %bb.9:                                ;   in Loop: Header=BB0_6 Depth=2
	v_cmp_ge_f64_e32 vcc, 0, v[4:5]
	v_mov_b32_e32 v7, v1
	v_mov_b32_e32 v6, v0
	v_cndmask_b32_e32 v3, 0, v1, vcc
	v_cndmask_b32_e32 v2, 0, v0, vcc
.LBB0_10:                               ;   in Loop: Header=BB0_6 Depth=2
	s_or_b64 exec, exec, s[4:5]
	v_add_f64 v[0:1], v[17:18], v[17:18]
	v_add_f64 v[4:5], v[15:16], v[15:16]
	v_mul_f64 v[19:20], v[21:22], 0.5
                                        ; implicit-def: $sgpr6_sgpr7
                                        ; implicit-def: $vgpr27_vgpr28
                                        ; implicit-def: $vgpr29_vgpr30
	v_min_f64 v[23:24], v[0:1], v[4:5]
	v_max_f64 v[4:5], v[0:1], v[4:5]
	v_fma_f64 v[25:26], v[9:10], v[19:20], v[2:3]
	v_fma_f64 v[2:3], v[9:10], v[19:20], v[6:7]
	v_add_f64 v[0:1], v[11:12], v[23:24]
	v_add_f64 v[23:24], v[11:12], v[4:5]
	v_cmp_ge_f64_e32 vcc, 0, v[0:1]
	v_cmp_le_f64_e64 s[4:5], 0, v[23:24]
	s_and_b64 s[4:5], vcc, s[4:5]
	s_and_saveexec_b64 s[36:37], s[4:5]
	s_xor_b64 s[36:37], exec, s[36:37]
	s_cbranch_execz .LBB0_46
; %bb.11:                               ;   in Loop: Header=BB0_6 Depth=2
	v_cmp_eq_f64_e64 s[6:7], 0, v[0:1]
	v_cmp_neq_f64_e32 vcc, 0, v[23:24]
	v_cmp_eq_f64_e64 s[4:5], 0, v[23:24]
                                        ; implicit-def: $vgpr27_vgpr28
                                        ; implicit-def: $vgpr29_vgpr30
	s_and_saveexec_b64 s[38:39], s[6:7]
	s_xor_b64 s[38:39], exec, s[38:39]
	s_cbranch_execz .LBB0_23
; %bb.12:                               ;   in Loop: Header=BB0_6 Depth=2
	v_mov_b32_e32 v27, 0
	v_mov_b32_e32 v29, 0
	;; [unrolled: 1-line block ×4, first 2 shown]
	s_and_saveexec_b64 s[40:41], vcc
	s_cbranch_execz .LBB0_22
; %bb.13:                               ;   in Loop: Header=BB0_6 Depth=2
	v_cmp_neq_f64_e32 vcc, 0, v[25:26]
	v_cmp_neq_f64_e64 s[6:7], 0, v[2:3]
	v_mov_b32_e32 v28, v26
	v_mov_b32_e32 v30, v3
	;; [unrolled: 1-line block ×4, first 2 shown]
	s_or_b64 s[42:43], vcc, s[6:7]
	s_and_saveexec_b64 s[6:7], s[42:43]
	s_cbranch_execz .LBB0_21
; %bb.14:                               ;   in Loop: Header=BB0_6 Depth=2
	v_cmp_ngt_f64_e32 vcc, 0, v[2:3]
                                        ; implicit-def: $vgpr27_vgpr28
	s_and_saveexec_b64 s[42:43], vcc
	s_xor_b64 s[42:43], exec, s[42:43]
	s_cbranch_execz .LBB0_18
; %bb.15:                               ;   in Loop: Header=BB0_6 Depth=2
	v_cmp_ngt_f64_e32 vcc, 0, v[25:26]
	v_mov_b32_e32 v27, 0
	v_mov_b32_e32 v28, 0xfff00000
	s_and_saveexec_b64 s[44:45], vcc
	s_cbranch_execz .LBB0_17
; %bb.16:                               ;   in Loop: Header=BB0_6 Depth=2
	v_div_scale_f64 v[4:5], s[46:47], v[23:24], v[23:24], v[25:26]
	v_div_scale_f64 v[29:30], vcc, v[25:26], v[23:24], v[25:26]
	v_rcp_f64_e32 v[6:7], v[4:5]
	v_fma_f64 v[27:28], -v[4:5], v[6:7], 1.0
	v_fma_f64 v[6:7], v[6:7], v[27:28], v[6:7]
	v_fma_f64 v[27:28], -v[4:5], v[6:7], 1.0
	v_fma_f64 v[6:7], v[6:7], v[27:28], v[6:7]
	v_mul_f64 v[27:28], v[29:30], v[6:7]
	v_fma_f64 v[4:5], -v[4:5], v[27:28], v[29:30]
	v_div_fmas_f64 v[4:5], v[4:5], v[6:7], v[27:28]
	v_div_fixup_f64 v[27:28], v[4:5], v[23:24], v[25:26]
.LBB0_17:                               ;   in Loop: Header=BB0_6 Depth=2
	s_or_b64 exec, exec, s[44:45]
.LBB0_18:                               ;   in Loop: Header=BB0_6 Depth=2
	s_or_saveexec_b64 s[42:43], s[42:43]
	v_mov_b32_e32 v29, 0
	v_mov_b32_e32 v30, 0x7ff00000
	s_xor_b64 exec, exec, s[42:43]
	s_cbranch_execz .LBB0_20
; %bb.19:                               ;   in Loop: Header=BB0_6 Depth=2
	v_div_scale_f64 v[4:5], s[44:45], v[23:24], v[23:24], v[2:3]
	v_div_scale_f64 v[29:30], vcc, v[2:3], v[23:24], v[2:3]
	v_rcp_f64_e32 v[6:7], v[4:5]
	v_fma_f64 v[27:28], -v[4:5], v[6:7], 1.0
	v_fma_f64 v[6:7], v[6:7], v[27:28], v[6:7]
	v_fma_f64 v[27:28], -v[4:5], v[6:7], 1.0
	v_fma_f64 v[6:7], v[6:7], v[27:28], v[6:7]
	v_mul_f64 v[27:28], v[29:30], v[6:7]
	v_fma_f64 v[4:5], -v[4:5], v[27:28], v[29:30]
	v_div_fmas_f64 v[4:5], v[4:5], v[6:7], v[27:28]
	v_mov_b32_e32 v27, 0
	v_mov_b32_e32 v28, 0xfff00000
	v_div_fixup_f64 v[29:30], v[4:5], v[23:24], v[2:3]
.LBB0_20:                               ;   in Loop: Header=BB0_6 Depth=2
	s_or_b64 exec, exec, s[42:43]
.LBB0_21:                               ;   in Loop: Header=BB0_6 Depth=2
	s_or_b64 exec, exec, s[6:7]
.LBB0_22:                               ;   in Loop: Header=BB0_6 Depth=2
	s_or_b64 exec, exec, s[40:41]
.LBB0_23:                               ;   in Loop: Header=BB0_6 Depth=2
	s_or_saveexec_b64 s[38:39], s[38:39]
	s_mov_b64 s[6:7], 0
	s_xor_b64 exec, exec, s[38:39]
	s_cbranch_execz .LBB0_45
; %bb.24:                               ;   in Loop: Header=BB0_6 Depth=2
	v_cmp_neq_f64_e32 vcc, 0, v[25:26]
	v_cmp_neq_f64_e64 s[6:7], 0, v[2:3]
                                        ; implicit-def: $vgpr27_vgpr28
                                        ; implicit-def: $vgpr29_vgpr30
	s_or_b64 s[6:7], vcc, s[6:7]
	s_and_saveexec_b64 s[40:41], s[4:5]
	s_xor_b64 s[4:5], exec, s[40:41]
	s_cbranch_execz .LBB0_34
; %bb.25:                               ;   in Loop: Header=BB0_6 Depth=2
	v_mov_b32_e32 v28, v26
	v_mov_b32_e32 v30, v3
	;; [unrolled: 1-line block ×4, first 2 shown]
	s_and_saveexec_b64 s[40:41], s[6:7]
	s_cbranch_execz .LBB0_33
; %bb.26:                               ;   in Loop: Header=BB0_6 Depth=2
	v_cmp_ngt_f64_e32 vcc, 0, v[2:3]
                                        ; implicit-def: $vgpr29_vgpr30
	s_and_saveexec_b64 s[42:43], vcc
	s_xor_b64 s[42:43], exec, s[42:43]
	s_cbranch_execz .LBB0_30
; %bb.27:                               ;   in Loop: Header=BB0_6 Depth=2
	v_cmp_ngt_f64_e32 vcc, 0, v[25:26]
	v_mov_b32_e32 v29, 0
	v_mov_b32_e32 v30, 0x7ff00000
	s_and_saveexec_b64 s[44:45], vcc
	s_cbranch_execz .LBB0_29
; %bb.28:                               ;   in Loop: Header=BB0_6 Depth=2
	v_div_scale_f64 v[4:5], s[46:47], v[0:1], v[0:1], v[25:26]
	v_div_scale_f64 v[29:30], vcc, v[25:26], v[0:1], v[25:26]
	v_rcp_f64_e32 v[6:7], v[4:5]
	v_fma_f64 v[27:28], -v[4:5], v[6:7], 1.0
	v_fma_f64 v[6:7], v[6:7], v[27:28], v[6:7]
	v_fma_f64 v[27:28], -v[4:5], v[6:7], 1.0
	v_fma_f64 v[6:7], v[6:7], v[27:28], v[6:7]
	v_mul_f64 v[27:28], v[29:30], v[6:7]
	v_fma_f64 v[4:5], -v[4:5], v[27:28], v[29:30]
	v_div_fmas_f64 v[4:5], v[4:5], v[6:7], v[27:28]
	v_div_fixup_f64 v[29:30], v[4:5], v[0:1], v[25:26]
.LBB0_29:                               ;   in Loop: Header=BB0_6 Depth=2
	s_or_b64 exec, exec, s[44:45]
.LBB0_30:                               ;   in Loop: Header=BB0_6 Depth=2
	s_or_saveexec_b64 s[42:43], s[42:43]
	v_mov_b32_e32 v27, 0
	v_mov_b32_e32 v28, 0xfff00000
	s_xor_b64 exec, exec, s[42:43]
	s_cbranch_execz .LBB0_32
; %bb.31:                               ;   in Loop: Header=BB0_6 Depth=2
	v_div_scale_f64 v[4:5], s[44:45], v[0:1], v[0:1], v[2:3]
	v_div_scale_f64 v[29:30], vcc, v[2:3], v[0:1], v[2:3]
	v_rcp_f64_e32 v[6:7], v[4:5]
	v_fma_f64 v[27:28], -v[4:5], v[6:7], 1.0
	v_fma_f64 v[6:7], v[6:7], v[27:28], v[6:7]
	v_fma_f64 v[27:28], -v[4:5], v[6:7], 1.0
	v_fma_f64 v[6:7], v[6:7], v[27:28], v[6:7]
	v_mul_f64 v[27:28], v[29:30], v[6:7]
	v_fma_f64 v[4:5], -v[4:5], v[27:28], v[29:30]
	v_mov_b32_e32 v29, 0
	v_mov_b32_e32 v30, 0x7ff00000
	v_div_fmas_f64 v[4:5], v[4:5], v[6:7], v[27:28]
	v_div_fixup_f64 v[27:28], v[4:5], v[0:1], v[2:3]
.LBB0_32:                               ;   in Loop: Header=BB0_6 Depth=2
	s_or_b64 exec, exec, s[42:43]
.LBB0_33:                               ;   in Loop: Header=BB0_6 Depth=2
	s_or_b64 exec, exec, s[40:41]
.LBB0_34:                               ;   in Loop: Header=BB0_6 Depth=2
	s_or_saveexec_b64 s[4:5], s[4:5]
	s_mov_b64 s[40:41], 0
	s_xor_b64 exec, exec, s[4:5]
	s_cbranch_execz .LBB0_44
; %bb.35:                               ;   in Loop: Header=BB0_6 Depth=2
	v_mov_b32_e32 v28, v26
	v_mov_b32_e32 v30, v3
	s_mov_b64 s[42:43], 0
	v_mov_b32_e32 v27, v25
	v_mov_b32_e32 v29, v2
	s_and_saveexec_b64 s[40:41], s[6:7]
	s_cbranch_execz .LBB0_43
; %bb.36:                               ;   in Loop: Header=BB0_6 Depth=2
	v_cmp_ngt_f64_e32 vcc, 0, v[2:3]
                                        ; implicit-def: $sgpr6_sgpr7
                                        ; implicit-def: $vgpr29_vgpr30
	s_and_saveexec_b64 s[42:43], vcc
	s_xor_b64 s[42:43], exec, s[42:43]
	s_cbranch_execz .LBB0_40
; %bb.37:                               ;   in Loop: Header=BB0_6 Depth=2
	v_cmp_ngt_f64_e32 vcc, 0, v[25:26]
	v_mov_b32_e32 v29, 0
	v_mov_b32_e32 v30, 0x7ff00000
	s_mov_b64 s[6:7], 0
	s_and_saveexec_b64 s[44:45], vcc
	s_cbranch_execz .LBB0_39
; %bb.38:                               ;   in Loop: Header=BB0_6 Depth=2
	v_div_scale_f64 v[4:5], s[46:47], v[0:1], v[0:1], v[25:26]
	v_div_scale_f64 v[29:30], vcc, v[25:26], v[0:1], v[25:26]
	s_mov_b64 s[6:7], exec
	v_rcp_f64_e32 v[6:7], v[4:5]
	v_fma_f64 v[27:28], -v[4:5], v[6:7], 1.0
	v_fma_f64 v[6:7], v[6:7], v[27:28], v[6:7]
	v_fma_f64 v[27:28], -v[4:5], v[6:7], 1.0
	v_fma_f64 v[6:7], v[6:7], v[27:28], v[6:7]
	v_mul_f64 v[27:28], v[29:30], v[6:7]
	v_fma_f64 v[4:5], -v[4:5], v[27:28], v[29:30]
	v_div_fmas_f64 v[4:5], v[4:5], v[6:7], v[27:28]
	v_div_fixup_f64 v[29:30], v[4:5], v[0:1], v[25:26]
.LBB0_39:                               ;   in Loop: Header=BB0_6 Depth=2
	s_or_b64 exec, exec, s[44:45]
.LBB0_40:                               ;   in Loop: Header=BB0_6 Depth=2
	s_andn2_saveexec_b64 s[42:43], s[42:43]
	s_cbranch_execz .LBB0_42
; %bb.41:                               ;   in Loop: Header=BB0_6 Depth=2
	v_div_scale_f64 v[4:5], s[44:45], v[23:24], v[23:24], v[2:3]
	v_div_scale_f64 v[29:30], vcc, v[2:3], v[23:24], v[2:3]
	s_or_b64 s[6:7], s[6:7], exec
	v_rcp_f64_e32 v[6:7], v[4:5]
	v_fma_f64 v[27:28], -v[4:5], v[6:7], 1.0
	v_fma_f64 v[6:7], v[6:7], v[27:28], v[6:7]
	v_fma_f64 v[27:28], -v[4:5], v[6:7], 1.0
	v_fma_f64 v[6:7], v[6:7], v[27:28], v[6:7]
	v_mul_f64 v[27:28], v[29:30], v[6:7]
	v_fma_f64 v[4:5], -v[4:5], v[27:28], v[29:30]
	v_div_fmas_f64 v[4:5], v[4:5], v[6:7], v[27:28]
	v_div_fixup_f64 v[29:30], v[4:5], v[23:24], v[2:3]
.LBB0_42:                               ;   in Loop: Header=BB0_6 Depth=2
	s_or_b64 exec, exec, s[42:43]
	v_mov_b32_e32 v27, 0
	v_mov_b32_e32 v28, 0xfff00000
	s_and_b64 s[42:43], s[6:7], exec
.LBB0_43:                               ;   in Loop: Header=BB0_6 Depth=2
	s_or_b64 exec, exec, s[40:41]
	s_and_b64 s[40:41], s[42:43], exec
.LBB0_44:                               ;   in Loop: Header=BB0_6 Depth=2
	s_or_b64 exec, exec, s[4:5]
	s_and_b64 s[6:7], s[40:41], exec
.LBB0_45:                               ;   in Loop: Header=BB0_6 Depth=2
	s_or_b64 exec, exec, s[38:39]
.LBB0_46:                               ;   in Loop: Header=BB0_6 Depth=2
	s_andn2_saveexec_b64 s[36:37], s[36:37]
	s_cbranch_execz .LBB0_52
; %bb.47:                               ;   in Loop: Header=BB0_6 Depth=2
	v_cmp_gt_f64_e32 vcc, 0, v[23:24]
	v_cmp_ngt_f64_e64 s[4:5], 0, v[2:3]
	v_mov_b32_e32 v4, v23
	v_mov_b32_e32 v7, v1
	;; [unrolled: 1-line block ×4, first 2 shown]
	s_and_saveexec_b64 s[38:39], s[4:5]
	s_cbranch_execz .LBB0_51
; %bb.48:                               ;   in Loop: Header=BB0_6 Depth=2
	v_cmp_gt_f64_e64 s[4:5], 0, v[25:26]
	v_mov_b32_e32 v6, v23
	v_mov_b32_e32 v5, v1
	;; [unrolled: 1-line block ×4, first 2 shown]
	s_and_saveexec_b64 s[40:41], s[4:5]
; %bb.49:                               ;   in Loop: Header=BB0_6 Depth=2
	v_cndmask_b32_e32 v6, v0, v23, vcc
	v_cndmask_b32_e32 v7, v1, v24, vcc
	v_mov_b32_e32 v4, v6
	v_mov_b32_e32 v5, v7
; %bb.50:                               ;   in Loop: Header=BB0_6 Depth=2
	s_or_b64 exec, exec, s[40:41]
.LBB0_51:                               ;   in Loop: Header=BB0_6 Depth=2
	s_or_b64 exec, exec, s[38:39]
	v_cndmask_b32_e32 v28, v26, v3, vcc
	v_cndmask_b32_e32 v27, v25, v2, vcc
	v_div_scale_f64 v[35:36], s[4:5], v[6:7], v[6:7], v[27:28]
	v_cndmask_b32_e32 v30, v3, v26, vcc
	v_cndmask_b32_e32 v29, v2, v25, vcc
	s_andn2_b64 s[6:7], s[6:7], exec
	v_rcp_f64_e32 v[37:38], v[35:36]
	v_fma_f64 v[39:40], -v[35:36], v[37:38], 1.0
	v_fma_f64 v[37:38], v[37:38], v[39:40], v[37:38]
	v_fma_f64 v[39:40], -v[35:36], v[37:38], 1.0
	v_fma_f64 v[37:38], v[37:38], v[39:40], v[37:38]
	v_div_scale_f64 v[39:40], vcc, v[27:28], v[6:7], v[27:28]
	v_mul_f64 v[41:42], v[39:40], v[37:38]
	v_fma_f64 v[35:36], -v[35:36], v[41:42], v[39:40]
	s_nop 1
	v_div_fmas_f64 v[35:36], v[35:36], v[37:38], v[41:42]
	v_div_fixup_f64 v[27:28], v[35:36], v[6:7], v[27:28]
	v_div_scale_f64 v[6:7], s[4:5], v[4:5], v[4:5], v[29:30]
	v_rcp_f64_e32 v[35:36], v[6:7]
	v_fma_f64 v[37:38], -v[6:7], v[35:36], 1.0
	v_fma_f64 v[35:36], v[35:36], v[37:38], v[35:36]
	v_fma_f64 v[37:38], -v[6:7], v[35:36], 1.0
	v_fma_f64 v[35:36], v[35:36], v[37:38], v[35:36]
	v_div_scale_f64 v[37:38], vcc, v[29:30], v[4:5], v[29:30]
	v_mul_f64 v[39:40], v[37:38], v[35:36]
	v_fma_f64 v[6:7], -v[6:7], v[39:40], v[37:38]
	s_nop 1
	v_div_fmas_f64 v[6:7], v[6:7], v[35:36], v[39:40]
	v_div_fixup_f64 v[29:30], v[6:7], v[4:5], v[29:30]
.LBB0_52:                               ;   in Loop: Header=BB0_6 Depth=2
	s_or_b64 exec, exec, s[36:37]
	v_mov_b32_e32 v6, 0
	v_mov_b32_e32 v4, 0
	;; [unrolled: 1-line block ×4, first 2 shown]
	s_and_saveexec_b64 s[4:5], s[6:7]
	s_cbranch_execz .LBB0_58
; %bb.53:                               ;   in Loop: Header=BB0_6 Depth=2
	v_cmp_ngt_f64_e32 vcc, 0, v[2:3]
                                        ; implicit-def: $vgpr4_vgpr5
	s_and_saveexec_b64 s[36:37], vcc
	s_xor_b64 s[36:37], exec, s[36:37]
	s_cbranch_execz .LBB0_55
; %bb.54:                               ;   in Loop: Header=BB0_6 Depth=2
	v_div_scale_f64 v[0:1], s[38:39], v[23:24], v[23:24], v[25:26]
	v_div_scale_f64 v[6:7], vcc, v[25:26], v[23:24], v[25:26]
	v_rcp_f64_e32 v[2:3], v[0:1]
	v_fma_f64 v[4:5], -v[0:1], v[2:3], 1.0
	v_fma_f64 v[2:3], v[2:3], v[4:5], v[2:3]
	v_fma_f64 v[4:5], -v[0:1], v[2:3], 1.0
	v_fma_f64 v[2:3], v[2:3], v[4:5], v[2:3]
	v_mul_f64 v[4:5], v[6:7], v[2:3]
	v_fma_f64 v[0:1], -v[0:1], v[4:5], v[6:7]
	v_div_fmas_f64 v[0:1], v[0:1], v[2:3], v[4:5]
                                        ; implicit-def: $vgpr2_vgpr3
	v_div_fixup_f64 v[4:5], v[0:1], v[23:24], v[25:26]
                                        ; implicit-def: $vgpr0_vgpr1
.LBB0_55:                               ;   in Loop: Header=BB0_6 Depth=2
	s_andn2_saveexec_b64 s[36:37], s[36:37]
	s_cbranch_execz .LBB0_57
; %bb.56:                               ;   in Loop: Header=BB0_6 Depth=2
	v_div_scale_f64 v[4:5], s[38:39], v[0:1], v[0:1], v[2:3]
	v_div_scale_f64 v[25:26], vcc, v[2:3], v[0:1], v[2:3]
	v_rcp_f64_e32 v[6:7], v[4:5]
	v_fma_f64 v[23:24], -v[4:5], v[6:7], 1.0
	v_fma_f64 v[6:7], v[6:7], v[23:24], v[6:7]
	v_fma_f64 v[23:24], -v[4:5], v[6:7], 1.0
	v_fma_f64 v[6:7], v[6:7], v[23:24], v[6:7]
	v_mul_f64 v[23:24], v[25:26], v[6:7]
	v_fma_f64 v[4:5], -v[4:5], v[23:24], v[25:26]
	v_div_fmas_f64 v[4:5], v[4:5], v[6:7], v[23:24]
	v_div_fixup_f64 v[4:5], v[4:5], v[0:1], v[2:3]
.LBB0_57:                               ;   in Loop: Header=BB0_6 Depth=2
	s_or_b64 exec, exec, s[36:37]
	v_add_f64 v[0:1], v[19:20], s[20:21]
	v_add_f64 v[2:3], v[19:20], -v[4:5]
	v_max_f64 v[4:5], v[17:18], v[17:18]
	v_max_f64 v[6:7], v[15:16], v[15:16]
	;; [unrolled: 1-line block ×3, first 2 shown]
	v_min_f64 v[2:3], v[2:3], v[6:7]
	v_cmp_nle_f64_e32 vcc, v[0:1], v[2:3]
	v_cndmask_b32_e32 v5, v1, v32, vcc
	v_cndmask_b32_e64 v4, v0, 0, vcc
	v_cndmask_b32_e32 v7, v3, v32, vcc
	v_cndmask_b32_e64 v6, v2, 0, vcc
.LBB0_58:                               ;   in Loop: Header=BB0_6 Depth=2
	s_or_b64 exec, exec, s[4:5]
	v_add_f64 v[0:1], v[19:20], -v[29:30]
	v_add_f64 v[2:3], v[19:20], -v[27:28]
	v_max_f64 v[23:24], v[17:18], v[17:18]
	v_max_f64 v[25:26], v[15:16], v[15:16]
	;; [unrolled: 1-line block ×3, first 2 shown]
	v_min_f64 v[2:3], v[2:3], v[25:26]
	v_cmp_nle_f64_e32 vcc, v[0:1], v[2:3]
	v_cndmask_b32_e32 v1, v1, v32, vcc
	v_cndmask_b32_e64 v0, v0, 0, vcc
	v_cndmask_b32_e32 v3, v3, v32, vcc
	v_cndmask_b32_e64 v2, v2, 0, vcc
	v_add_f64 v[23:24], v[0:1], v[2:3]
	v_cmp_o_f64_e32 vcc, v[23:24], v[23:24]
	s_and_saveexec_b64 s[36:37], vcc
	s_cbranch_execz .LBB0_70
; %bb.59:                               ;   in Loop: Header=BB0_6 Depth=2
	v_mul_f64 v[23:24], v[23:24], 0.5
	v_add_f64 v[25:26], v[2:3], -v[0:1]
	s_mov_b64 s[40:41], -1
	v_mul_f64 v[23:24], |v[23:24]|, s[22:23]
	v_cmp_nle_f64_e32 vcc, v[25:26], v[23:24]
	s_and_saveexec_b64 s[38:39], vcc
	s_cbranch_execz .LBB0_67
; %bb.60:                               ;   in Loop: Header=BB0_6 Depth=2
	v_add_f64 v[29:30], v[0:1], -1.0
	v_add_f64 v[27:28], v[2:3], -1.0
	v_cmp_le_f64_e32 vcc, 0, v[29:30]
	v_mul_f64 v[23:24], v[29:30], v[29:30]
	v_mul_f64 v[25:26], v[27:28], v[27:28]
	s_and_saveexec_b64 s[4:5], vcc
	s_xor_b64 s[4:5], exec, s[4:5]
	s_cbranch_execz .LBB0_62
; %bb.61:                               ;   in Loop: Header=BB0_6 Depth=2
	v_mul_f64 v[25:26], v[29:30], v[29:30]
	v_mul_f64 v[23:24], v[27:28], v[27:28]
                                        ; implicit-def: $vgpr27_vgpr28
.LBB0_62:                               ;   in Loop: Header=BB0_6 Depth=2
	s_andn2_saveexec_b64 s[4:5], s[4:5]
	s_cbranch_execz .LBB0_66
; %bb.63:                               ;   in Loop: Header=BB0_6 Depth=2
	v_cmp_ge_f64_e32 vcc, 0, v[27:28]
	s_and_saveexec_b64 s[40:41], vcc
	s_xor_b64 s[40:41], exec, s[40:41]
	s_andn2_saveexec_b64 s[40:41], s[40:41]
	s_cbranch_execz .LBB0_65
; %bb.64:                               ;   in Loop: Header=BB0_6 Depth=2
	v_max_f64 v[23:24], v[23:24], v[25:26]
	v_mov_b32_e32 v25, 0
	v_mov_b32_e32 v26, 0
.LBB0_65:                               ;   in Loop: Header=BB0_6 Depth=2
	s_or_b64 exec, exec, s[40:41]
.LBB0_66:                               ;   in Loop: Header=BB0_6 Depth=2
	s_or_b64 exec, exec, s[4:5]
	v_mul_f64 v[27:28], v[9:10], v[0:1]
	v_mul_f64 v[29:30], v[9:10], v[2:3]
	v_min_f64 v[35:36], v[27:28], v[29:30]
	v_max_f64 v[27:28], v[27:28], v[29:30]
	v_add_f64 v[25:26], v[35:36], v[25:26]
	v_add_f64 v[23:24], v[27:28], v[23:24]
	;; [unrolled: 1-line block ×3, first 2 shown]
	v_add_f64 v[23:24], v[23:24], -v[25:26]
	v_cmp_u_f64_e32 vcc, v[27:28], v[27:28]
	v_cmp_ge_f64_e64 s[4:5], s[22:23], v[23:24]
	s_or_b64 s[4:5], vcc, s[4:5]
	s_orn2_b64 s[40:41], s[4:5], exec
.LBB0_67:                               ;   in Loop: Header=BB0_6 Depth=2
	s_or_b64 exec, exec, s[38:39]
	s_and_saveexec_b64 s[4:5], s[40:41]
	s_cbranch_execz .LBB0_69
; %bb.68:                               ;   in Loop: Header=BB0_6 Depth=2
	v_ashrrev_i32_e32 v14, 31, v13
	v_lshlrev_b64 v[23:24], 4, v[13:14]
	v_mov_b32_e32 v14, s13
	v_add_co_u32_e32 v23, vcc, s12, v23
	v_addc_co_u32_e32 v24, vcc, v14, v24, vcc
	global_store_dwordx4 v[23:24], v[0:3], off
	v_add_u32_e32 v13, 0x10000, v13
	v_mov_b32_e32 v2, 0
	v_mov_b32_e32 v3, 0x7ff80000
	;; [unrolled: 1-line block ×5, first 2 shown]
.LBB0_69:                               ;   in Loop: Header=BB0_6 Depth=2
	s_or_b64 exec, exec, s[4:5]
.LBB0_70:                               ;   in Loop: Header=BB0_6 Depth=2
	s_or_b64 exec, exec, s[36:37]
	s_and_saveexec_b64 s[36:37], s[6:7]
	s_cbranch_execz .LBB0_84
; %bb.71:                               ;   in Loop: Header=BB0_6 Depth=2
	v_add_f64 v[23:24], v[4:5], v[6:7]
	v_cmp_o_f64_e32 vcc, v[23:24], v[23:24]
	s_and_saveexec_b64 s[38:39], vcc
	s_cbranch_execz .LBB0_83
; %bb.72:                               ;   in Loop: Header=BB0_6 Depth=2
	v_mul_f64 v[23:24], v[23:24], 0.5
	v_add_f64 v[25:26], v[6:7], -v[4:5]
	s_mov_b64 s[42:43], -1
	v_mul_f64 v[23:24], |v[23:24]|, s[22:23]
	v_cmp_nle_f64_e32 vcc, v[25:26], v[23:24]
	s_and_saveexec_b64 s[40:41], vcc
	s_cbranch_execz .LBB0_80
; %bb.73:                               ;   in Loop: Header=BB0_6 Depth=2
	v_add_f64 v[29:30], v[4:5], -1.0
	v_add_f64 v[27:28], v[6:7], -1.0
	v_cmp_le_f64_e32 vcc, 0, v[29:30]
	v_mul_f64 v[23:24], v[29:30], v[29:30]
	v_mul_f64 v[25:26], v[27:28], v[27:28]
	s_and_saveexec_b64 s[4:5], vcc
	s_xor_b64 s[4:5], exec, s[4:5]
	s_cbranch_execz .LBB0_75
; %bb.74:                               ;   in Loop: Header=BB0_6 Depth=2
	v_mul_f64 v[25:26], v[29:30], v[29:30]
	v_mul_f64 v[23:24], v[27:28], v[27:28]
                                        ; implicit-def: $vgpr27_vgpr28
.LBB0_75:                               ;   in Loop: Header=BB0_6 Depth=2
	s_andn2_saveexec_b64 s[4:5], s[4:5]
	s_cbranch_execz .LBB0_79
; %bb.76:                               ;   in Loop: Header=BB0_6 Depth=2
	v_cmp_ge_f64_e32 vcc, 0, v[27:28]
	s_and_saveexec_b64 s[42:43], vcc
	s_xor_b64 s[42:43], exec, s[42:43]
	s_andn2_saveexec_b64 s[42:43], s[42:43]
	s_cbranch_execz .LBB0_78
; %bb.77:                               ;   in Loop: Header=BB0_6 Depth=2
	v_max_f64 v[23:24], v[23:24], v[25:26]
	v_mov_b32_e32 v25, 0
	v_mov_b32_e32 v26, 0
.LBB0_78:                               ;   in Loop: Header=BB0_6 Depth=2
	s_or_b64 exec, exec, s[42:43]
.LBB0_79:                               ;   in Loop: Header=BB0_6 Depth=2
	s_or_b64 exec, exec, s[4:5]
	v_mul_f64 v[27:28], v[9:10], v[4:5]
	v_mul_f64 v[29:30], v[9:10], v[6:7]
	v_min_f64 v[35:36], v[27:28], v[29:30]
	v_max_f64 v[27:28], v[27:28], v[29:30]
	v_add_f64 v[25:26], v[35:36], v[25:26]
	v_add_f64 v[23:24], v[27:28], v[23:24]
	;; [unrolled: 1-line block ×3, first 2 shown]
	v_add_f64 v[23:24], v[23:24], -v[25:26]
	v_cmp_u_f64_e32 vcc, v[27:28], v[27:28]
	v_cmp_ge_f64_e64 s[4:5], s[22:23], v[23:24]
	s_or_b64 s[4:5], vcc, s[4:5]
	s_orn2_b64 s[42:43], s[4:5], exec
.LBB0_80:                               ;   in Loop: Header=BB0_6 Depth=2
	s_or_b64 exec, exec, s[40:41]
	s_and_saveexec_b64 s[4:5], s[42:43]
	s_cbranch_execz .LBB0_82
; %bb.81:                               ;   in Loop: Header=BB0_6 Depth=2
	v_ashrrev_i32_e32 v14, 31, v13
	v_lshlrev_b64 v[23:24], 4, v[13:14]
	v_mov_b32_e32 v14, s13
	v_add_co_u32_e32 v23, vcc, s12, v23
	v_addc_co_u32_e32 v24, vcc, v14, v24, vcc
	global_store_dwordx4 v[23:24], v[4:7], off
	v_add_u32_e32 v13, 0x10000, v13
	v_mov_b32_e32 v6, 0
	v_mov_b32_e32 v7, 0x7ff80000
	;; [unrolled: 1-line block ×5, first 2 shown]
.LBB0_82:                               ;   in Loop: Header=BB0_6 Depth=2
	s_or_b64 exec, exec, s[4:5]
.LBB0_83:                               ;   in Loop: Header=BB0_6 Depth=2
	s_or_b64 exec, exec, s[38:39]
.LBB0_84:                               ;   in Loop: Header=BB0_6 Depth=2
	s_or_b64 exec, exec, s[36:37]
	v_add_f64 v[23:24], v[15:16], -v[17:18]
	v_cmp_o_f64_e32 vcc, v[21:22], v[21:22]
	v_add_f64 v[21:22], v[0:1], v[2:3]
	v_add_f64 v[27:28], v[2:3], -v[0:1]
	v_mul_f64 v[23:24], v[23:24], s[24:25]
	v_cndmask_b32_e32 v26, 0, v24, vcc
	v_cndmask_b32_e32 v25, 0, v23, vcc
	v_cmp_o_f64_e32 vcc, v[21:22], v[21:22]
	v_cmp_gt_f64_e64 s[4:5], v[27:28], v[25:26]
                                        ; implicit-def: $vgpr23_vgpr24
	s_and_b64 s[36:37], vcc, s[4:5]
	s_xor_b64 s[4:5], s[36:37], -1
	s_and_saveexec_b64 s[38:39], s[4:5]
	s_cbranch_execz .LBB0_86
; %bb.85:                               ;   in Loop: Header=BB0_6 Depth=2
	v_add_f64 v[23:24], v[4:5], v[6:7]
	v_add_f64 v[27:28], v[6:7], -v[4:5]
	s_andn2_b64 s[36:37], s[36:37], exec
	v_cmp_o_f64_e32 vcc, v[23:24], v[23:24]
	v_cmp_gt_f64_e64 s[4:5], v[27:28], v[25:26]
	s_and_b64 s[4:5], vcc, s[4:5]
	s_and_b64 s[4:5], s[4:5], exec
	s_or_b64 s[36:37], s[36:37], s[4:5]
.LBB0_86:                               ;   in Loop: Header=BB0_6 Depth=2
	s_or_b64 exec, exec, s[38:39]
	s_and_saveexec_b64 s[4:5], s[36:37]
	s_cbranch_execz .LBB0_88
; %bb.87:                               ;   in Loop: Header=BB0_6 Depth=2
	v_add_f64 v[21:22], v[17:18], v[19:20]
	v_add_f64 v[23:24], v[19:20], v[15:16]
	v_mov_b32_e32 v4, v19
	v_mov_b32_e32 v6, v15
	;; [unrolled: 1-line block ×4, first 2 shown]
	s_or_b64 s[6:7], s[6:7], exec
	v_mov_b32_e32 v5, v20
	v_mov_b32_e32 v7, v16
	;; [unrolled: 1-line block ×4, first 2 shown]
.LBB0_88:                               ;   in Loop: Header=BB0_6 Depth=2
	s_or_b64 exec, exec, s[4:5]
	v_cmp_o_f64_e32 vcc, v[23:24], v[23:24]
	v_cmp_o_f64_e64 s[4:5], v[21:22], v[21:22]
	s_and_b64 s[36:37], vcc, s[6:7]
	s_mov_b64 s[6:7], -1
	s_and_saveexec_b64 s[38:39], s[4:5]
	s_xor_b64 s[4:5], exec, s[38:39]
; %bb.89:                               ;   in Loop: Header=BB0_6 Depth=2
	s_orn2_b64 s[6:7], s[36:37], exec
; %bb.90:                               ;   in Loop: Header=BB0_6 Depth=2
	s_or_saveexec_b64 s[4:5], s[4:5]
	v_mov_b32_e32 v16, v3
	v_mov_b32_e32 v18, v1
	s_or_b64 s[34:35], s[34:35], exec
	v_mov_b32_e32 v15, v2
	v_mov_b32_e32 v17, v0
	s_xor_b64 exec, exec, s[4:5]
	s_cbranch_execz .LBB0_5
; %bb.91:                               ;   in Loop: Header=BB0_6 Depth=2
	s_xor_b64 s[36:37], s[36:37], -1
	s_andn2_b64 s[6:7], s[6:7], exec
	s_and_b64 s[36:37], s[36:37], exec
	v_mov_b32_e32 v16, v7
	v_mov_b32_e32 v18, v5
	s_andn2_b64 s[34:35], s[34:35], exec
	s_or_b64 s[6:7], s[6:7], s[36:37]
	v_mov_b32_e32 v15, v6
	v_mov_b32_e32 v17, v4
	s_branch .LBB0_5
.LBB0_92:                               ;   in Loop: Header=BB0_4 Depth=1
	s_or_b64 exec, exec, s[30:31]
	s_mov_b64 s[4:5], -1
                                        ; implicit-def: $vgpr14
	s_and_saveexec_b64 s[6:7], s[28:29]
	s_xor_b64 s[6:7], exec, s[6:7]
	s_cbranch_execz .LBB0_94
; %bb.93:                               ;   in Loop: Header=BB0_4 Depth=1
	v_add_u32_e32 v14, 1, v34
	v_lshl_add_u32 v15, v34, 4, v33
	s_xor_b64 s[4:5], exec, -1
	buffer_store_dword v5, v15, s[0:3], 0 offen offset:20
	buffer_store_dword v4, v15, s[0:3], 0 offen offset:16
	buffer_store_dword v7, v15, s[0:3], 0 offen offset:28
	buffer_store_dword v6, v15, s[0:3], 0 offen offset:24
.LBB0_94:                               ;   in Loop: Header=BB0_4 Depth=1
	s_or_b64 exec, exec, s[6:7]
	s_and_b64 s[4:5], exec, s[4:5]
	s_or_b64 s[26:27], s[4:5], s[26:27]
	s_andn2_b64 exec, exec, s[26:27]
	s_cbranch_execnz .LBB0_4
; %bb.95:                               ;   in Loop: Header=BB0_4 Depth=1
	s_or_b64 exec, exec, s[26:27]
	v_cmp_ne_u32_e32 vcc, -1, v34
	s_mov_b64 s[6:7], -1
                                        ; implicit-def: $vgpr2_vgpr3
                                        ; implicit-def: $vgpr14
	s_and_saveexec_b64 s[4:5], vcc
	s_cbranch_execz .LBB0_3
; %bb.96:                               ;   in Loop: Header=BB0_4 Depth=1
	v_lshl_add_u32 v4, v34, 4, v33
	buffer_load_dword v0, v4, s[0:3], 0 offen
	buffer_load_dword v1, v4, s[0:3], 0 offen offset:4
	buffer_load_dword v2, v4, s[0:3], 0 offen offset:8
	;; [unrolled: 1-line block ×3, first 2 shown]
	v_add_u32_e32 v14, -1, v34
	s_xor_b64 s[6:7], exec, -1
	s_branch .LBB0_3
.LBB0_97:
	s_mov_b64 s[4:5], 0
                                        ; implicit-def: $vgpr31
	s_cbranch_execnz .LBB0_100
	s_branch .LBB0_101
.LBB0_98:
	s_mov_b64 s[4:5], -1
                                        ; implicit-def: $vgpr31
	s_branch .LBB0_101
.LBB0_99:
	s_or_b64 exec, exec, s[10:11]
	s_mov_b64 s[4:5], 0
	s_branch .LBB0_101
.LBB0_100:
	s_cmp_lg_u32 s33, 0
	s_mov_b64 s[8:9], -1
	s_cselect_b64 s[4:5], -1, 0
.LBB0_101:
	v_cvt_f64_i32_e32 v[6:7], v8
	s_andn2_b64 vcc, exec, s[4:5]
	v_ldexp_f64 v[4:5], -v[6:7], -16
	s_cbranch_vccz .LBB0_103
; %bb.102:
	s_and_b64 vcc, exec, s[8:9]
	s_cbranch_vccnz .LBB0_182
	s_branch .LBB0_261
.LBB0_103:
	s_mov_b32 s4, 0
	s_mov_b32 s5, 0xbef00000
	v_fma_f64 v[9:10], v[6:7], s[4:5], -2.0
	s_waitcnt vmcnt(3)
	v_mov_b32_e32 v0, s17
	buffer_store_dword v0, off, s[0:3], 0 offset:4
	v_mov_b32_e32 v0, s16
	buffer_store_dword v0, off, s[0:3], 0
	v_mov_b32_e32 v0, s19
	s_brev_b32 s20, 5
	s_mov_b32 s22, 0
	s_brev_b32 s24, 1
	buffer_store_dword v0, off, s[0:3], 0 offset:12
	v_mov_b32_e32 v0, s18
	v_mov_b32_e32 v36, 0
	s_mov_b64 s[10:11], 0
	v_mov_b32_e32 v33, 0
	s_mov_b32 s21, 0x3eb0c6f7
	s_mov_b32 s23, 0xfff00000
	;; [unrolled: 1-line block ×3, first 2 shown]
	v_mov_b32_e32 v34, 0x7ff80000
	v_mov_b32_e32 v35, v8
	v_mov_b32_e32 v11, v8
	buffer_store_dword v0, off, s[0:3], 0 offset:8
	s_branch .LBB0_106
.LBB0_104:                              ;   in Loop: Header=BB0_106 Depth=1
	s_or_b64 exec, exec, s[4:5]
	v_mov_b32_e32 v19, v11
	v_mov_b32_e32 v31, v35
.LBB0_105:                              ;   in Loop: Header=BB0_106 Depth=1
	s_or_b64 exec, exec, s[26:27]
	v_cmp_eq_u32_e32 vcc, -1, v12
	s_or_b64 s[10:11], vcc, s[10:11]
	v_mov_b32_e32 v35, v31
	v_mov_b32_e32 v11, v19
	;; [unrolled: 1-line block ×3, first 2 shown]
	s_andn2_b64 exec, exec, s[10:11]
	s_cbranch_execz .LBB0_181
.LBB0_106:                              ; =>This Inner Loop Header: Depth=1
	v_lshl_add_u32 v37, v36, 4, v33
	buffer_load_dword v0, v37, s[0:3], 0 offen
	buffer_load_dword v1, v37, s[0:3], 0 offen offset:4
	buffer_load_dword v2, v37, s[0:3], 0 offen offset:8
	;; [unrolled: 1-line block ×3, first 2 shown]
	s_mov_b64 s[6:7], 0
                                        ; implicit-def: $vgpr19
                                        ; implicit-def: $vgpr31
	s_waitcnt vmcnt(0)
	v_add_f64 v[17:18], v[0:1], v[2:3]
	v_add_f64 v[15:16], v[2:3], -v[0:1]
	v_cmp_u_f64_e64 s[4:5], v[17:18], v[17:18]
	v_cmp_o_f64_e32 vcc, v[17:18], v[17:18]
	v_mul_f64 v[13:14], v[17:18], 0.5
	s_and_saveexec_b64 s[8:9], vcc
	s_xor_b64 s[8:9], exec, s[8:9]
	s_cbranch_execnz .LBB0_109
; %bb.107:                              ;   in Loop: Header=BB0_106 Depth=1
	s_andn2_saveexec_b64 s[8:9], s[8:9]
	s_cbranch_execnz .LBB0_120
.LBB0_108:                              ;   in Loop: Header=BB0_106 Depth=1
	s_or_b64 exec, exec, s[8:9]
	v_add_u32_e32 v12, -1, v36
	s_and_saveexec_b64 s[26:27], s[6:7]
	s_cbranch_execz .LBB0_105
	s_branch .LBB0_121
.LBB0_109:                              ;   in Loop: Header=BB0_106 Depth=1
	v_mul_f64 v[13:14], v[17:18], 0.5
	s_mov_b64 s[6:7], -1
	s_mov_b64 s[28:29], 0
	v_mul_f64 v[17:18], |v[13:14]|, s[20:21]
	v_cmp_nle_f64_e32 vcc, v[15:16], v[17:18]
	s_and_saveexec_b64 s[26:27], vcc
	s_cbranch_execz .LBB0_117
; %bb.110:                              ;   in Loop: Header=BB0_106 Depth=1
	v_add_f64 v[23:24], v[0:1], -1.0
	v_add_f64 v[21:22], v[2:3], -1.0
	v_cmp_le_f64_e32 vcc, 0, v[23:24]
	v_mul_f64 v[17:18], v[23:24], v[23:24]
	v_mul_f64 v[19:20], v[21:22], v[21:22]
	s_and_saveexec_b64 s[6:7], vcc
	s_xor_b64 s[6:7], exec, s[6:7]
	s_cbranch_execz .LBB0_112
; %bb.111:                              ;   in Loop: Header=BB0_106 Depth=1
	v_mul_f64 v[19:20], v[23:24], v[23:24]
	v_mul_f64 v[17:18], v[21:22], v[21:22]
                                        ; implicit-def: $vgpr21_vgpr22
.LBB0_112:                              ;   in Loop: Header=BB0_106 Depth=1
	s_andn2_saveexec_b64 s[6:7], s[6:7]
	s_cbranch_execz .LBB0_116
; %bb.113:                              ;   in Loop: Header=BB0_106 Depth=1
	v_cmp_ge_f64_e32 vcc, 0, v[21:22]
	s_and_saveexec_b64 s[28:29], vcc
	s_xor_b64 s[28:29], exec, s[28:29]
	s_andn2_saveexec_b64 s[28:29], s[28:29]
	s_cbranch_execz .LBB0_115
; %bb.114:                              ;   in Loop: Header=BB0_106 Depth=1
	v_max_f64 v[17:18], v[17:18], v[19:20]
	v_mov_b32_e32 v19, 0
	v_mov_b32_e32 v20, 0
.LBB0_115:                              ;   in Loop: Header=BB0_106 Depth=1
	s_or_b64 exec, exec, s[28:29]
.LBB0_116:                              ;   in Loop: Header=BB0_106 Depth=1
	s_or_b64 exec, exec, s[6:7]
	v_mul_f64 v[21:22], v[4:5], v[0:1]
	v_mul_f64 v[23:24], v[4:5], v[2:3]
	s_mov_b64 s[28:29], exec
	v_min_f64 v[25:26], v[21:22], v[23:24]
	v_max_f64 v[21:22], v[21:22], v[23:24]
	v_add_f64 v[19:20], v[25:26], v[19:20]
	v_add_f64 v[17:18], v[21:22], v[17:18]
	;; [unrolled: 1-line block ×3, first 2 shown]
	v_add_f64 v[17:18], v[17:18], -v[19:20]
	v_cmp_u_f64_e32 vcc, v[21:22], v[21:22]
	v_cmp_ge_f64_e64 s[6:7], s[20:21], v[17:18]
	s_or_b64 s[6:7], vcc, s[6:7]
	s_orn2_b64 s[6:7], s[6:7], exec
.LBB0_117:                              ;   in Loop: Header=BB0_106 Depth=1
	s_or_b64 exec, exec, s[26:27]
                                        ; implicit-def: $vgpr19
                                        ; implicit-def: $vgpr31
	s_and_saveexec_b64 s[26:27], s[6:7]
	s_xor_b64 s[6:7], exec, s[26:27]
	s_cbranch_execz .LBB0_119
; %bb.118:                              ;   in Loop: Header=BB0_106 Depth=1
	v_ashrrev_i32_e32 v12, 31, v11
	v_lshlrev_b64 v[17:18], 4, v[11:12]
	v_mov_b32_e32 v12, s13
	v_add_co_u32_e32 v17, vcc, s12, v17
	v_addc_co_u32_e32 v18, vcc, v12, v18, vcc
	v_add_u32_e32 v19, 0x10000, v11
	global_store_dwordx4 v[17:18], v[0:3], off
	s_andn2_b64 s[28:29], s[28:29], exec
	v_mov_b32_e32 v31, v19
.LBB0_119:                              ;   in Loop: Header=BB0_106 Depth=1
	s_or_b64 exec, exec, s[6:7]
	s_and_b64 s[6:7], s[28:29], exec
	s_andn2_saveexec_b64 s[8:9], s[8:9]
	s_cbranch_execz .LBB0_108
.LBB0_120:                              ;   in Loop: Header=BB0_106 Depth=1
	s_or_b64 s[6:7], s[6:7], exec
	s_or_b64 exec, exec, s[8:9]
	v_add_u32_e32 v12, -1, v36
	s_and_saveexec_b64 s[26:27], s[6:7]
	s_cbranch_execz .LBB0_105
.LBB0_121:                              ;   in Loop: Header=BB0_106 Depth=1
	v_add_f64 v[21:22], v[13:14], -1.0
                                        ; implicit-def: $vgpr19_vgpr20
	v_cmp_le_f64_e32 vcc, 0, v[21:22]
	v_mul_f64 v[17:18], v[21:22], v[21:22]
	s_and_saveexec_b64 s[6:7], vcc
	s_xor_b64 s[6:7], exec, s[6:7]
; %bb.122:                              ;   in Loop: Header=BB0_106 Depth=1
	v_mul_f64 v[19:20], v[21:22], v[21:22]
                                        ; implicit-def: $vgpr21_vgpr22
                                        ; implicit-def: $vgpr17_vgpr18
; %bb.123:                              ;   in Loop: Header=BB0_106 Depth=1
	s_or_saveexec_b64 s[6:7], s[6:7]
	v_mov_b32_e32 v26, v20
	v_mov_b32_e32 v25, v19
	s_xor_b64 exec, exec, s[6:7]
	s_cbranch_execz .LBB0_125
; %bb.124:                              ;   in Loop: Header=BB0_106 Depth=1
	v_cmp_ge_f64_e32 vcc, 0, v[21:22]
	v_mov_b32_e32 v26, v18
	v_mov_b32_e32 v25, v17
	v_cndmask_b32_e32 v20, 0, v18, vcc
	v_cndmask_b32_e32 v19, 0, v17, vcc
.LBB0_125:                              ;   in Loop: Header=BB0_106 Depth=1
	s_or_b64 exec, exec, s[6:7]
	v_add_f64 v[17:18], v[0:1], v[0:1]
	v_add_f64 v[21:22], v[2:3], v[2:3]
                                        ; implicit-def: $sgpr8_sgpr9
                                        ; implicit-def: $vgpr27_vgpr28
	v_min_f64 v[23:24], v[17:18], v[21:22]
	v_max_f64 v[21:22], v[17:18], v[21:22]
	v_add_f64 v[17:18], v[9:10], v[23:24]
	v_add_f64 v[21:22], v[9:10], v[21:22]
	v_fma_f64 v[23:24], v[4:5], v[13:14], v[19:20]
	v_fma_f64 v[19:20], v[4:5], v[13:14], v[25:26]
                                        ; implicit-def: $vgpr25_vgpr26
	v_cmp_ge_f64_e32 vcc, 0, v[17:18]
	v_cmp_le_f64_e64 s[6:7], 0, v[21:22]
	s_and_b64 s[6:7], vcc, s[6:7]
	s_and_saveexec_b64 s[28:29], s[6:7]
	s_xor_b64 s[28:29], exec, s[28:29]
	s_cbranch_execz .LBB0_161
; %bb.126:                              ;   in Loop: Header=BB0_106 Depth=1
	v_cmp_eq_f64_e64 s[8:9], 0, v[17:18]
	v_cmp_neq_f64_e32 vcc, 0, v[21:22]
	v_cmp_eq_f64_e64 s[6:7], 0, v[21:22]
                                        ; implicit-def: $vgpr25_vgpr26
                                        ; implicit-def: $vgpr27_vgpr28
	s_and_saveexec_b64 s[30:31], s[8:9]
	s_xor_b64 s[30:31], exec, s[30:31]
	s_cbranch_execz .LBB0_138
; %bb.127:                              ;   in Loop: Header=BB0_106 Depth=1
	v_mov_b32_e32 v25, 0
	v_mov_b32_e32 v27, 0
	;; [unrolled: 1-line block ×4, first 2 shown]
	s_and_saveexec_b64 s[34:35], vcc
	s_cbranch_execz .LBB0_137
; %bb.128:                              ;   in Loop: Header=BB0_106 Depth=1
	v_cmp_neq_f64_e32 vcc, 0, v[23:24]
	v_cmp_neq_f64_e64 s[8:9], 0, v[19:20]
	v_mov_b32_e32 v26, v24
	v_mov_b32_e32 v28, v20
	v_mov_b32_e32 v25, v23
	v_mov_b32_e32 v27, v19
	s_or_b64 s[36:37], vcc, s[8:9]
	s_and_saveexec_b64 s[8:9], s[36:37]
	s_cbranch_execz .LBB0_136
; %bb.129:                              ;   in Loop: Header=BB0_106 Depth=1
	v_cmp_ngt_f64_e32 vcc, 0, v[19:20]
                                        ; implicit-def: $vgpr25_vgpr26
	s_and_saveexec_b64 s[36:37], vcc
	s_xor_b64 s[36:37], exec, s[36:37]
	s_cbranch_execz .LBB0_133
; %bb.130:                              ;   in Loop: Header=BB0_106 Depth=1
	v_cmp_ngt_f64_e32 vcc, 0, v[23:24]
	v_mov_b32_e32 v25, 0
	v_mov_b32_e32 v26, 0xfff00000
	s_and_saveexec_b64 s[38:39], vcc
	s_cbranch_execz .LBB0_132
; %bb.131:                              ;   in Loop: Header=BB0_106 Depth=1
	v_div_scale_f64 v[25:26], s[40:41], v[21:22], v[21:22], v[23:24]
	v_div_scale_f64 v[31:32], vcc, v[23:24], v[21:22], v[23:24]
	v_rcp_f64_e32 v[27:28], v[25:26]
	v_fma_f64 v[29:30], -v[25:26], v[27:28], 1.0
	v_fma_f64 v[27:28], v[27:28], v[29:30], v[27:28]
	v_fma_f64 v[29:30], -v[25:26], v[27:28], 1.0
	v_fma_f64 v[27:28], v[27:28], v[29:30], v[27:28]
	v_mul_f64 v[29:30], v[31:32], v[27:28]
	v_fma_f64 v[25:26], -v[25:26], v[29:30], v[31:32]
	v_div_fmas_f64 v[25:26], v[25:26], v[27:28], v[29:30]
	v_div_fixup_f64 v[25:26], v[25:26], v[21:22], v[23:24]
.LBB0_132:                              ;   in Loop: Header=BB0_106 Depth=1
	s_or_b64 exec, exec, s[38:39]
.LBB0_133:                              ;   in Loop: Header=BB0_106 Depth=1
	s_or_saveexec_b64 s[36:37], s[36:37]
	v_mov_b32_e32 v27, 0
	v_mov_b32_e32 v28, 0x7ff00000
	s_xor_b64 exec, exec, s[36:37]
	s_cbranch_execz .LBB0_135
; %bb.134:                              ;   in Loop: Header=BB0_106 Depth=1
	v_div_scale_f64 v[25:26], s[38:39], v[21:22], v[21:22], v[19:20]
	v_div_scale_f64 v[31:32], vcc, v[19:20], v[21:22], v[19:20]
	v_rcp_f64_e32 v[27:28], v[25:26]
	v_fma_f64 v[29:30], -v[25:26], v[27:28], 1.0
	v_fma_f64 v[27:28], v[27:28], v[29:30], v[27:28]
	v_fma_f64 v[29:30], -v[25:26], v[27:28], 1.0
	v_fma_f64 v[27:28], v[27:28], v[29:30], v[27:28]
	v_mul_f64 v[29:30], v[31:32], v[27:28]
	v_fma_f64 v[25:26], -v[25:26], v[29:30], v[31:32]
	v_div_fmas_f64 v[25:26], v[25:26], v[27:28], v[29:30]
	v_div_fixup_f64 v[27:28], v[25:26], v[21:22], v[19:20]
	v_mov_b32_e32 v25, 0
	v_mov_b32_e32 v26, 0xfff00000
.LBB0_135:                              ;   in Loop: Header=BB0_106 Depth=1
	s_or_b64 exec, exec, s[36:37]
.LBB0_136:                              ;   in Loop: Header=BB0_106 Depth=1
	s_or_b64 exec, exec, s[8:9]
.LBB0_137:                              ;   in Loop: Header=BB0_106 Depth=1
	s_or_b64 exec, exec, s[34:35]
.LBB0_138:                              ;   in Loop: Header=BB0_106 Depth=1
	s_or_saveexec_b64 s[30:31], s[30:31]
	s_mov_b64 s[8:9], 0
	s_xor_b64 exec, exec, s[30:31]
	s_cbranch_execz .LBB0_160
; %bb.139:                              ;   in Loop: Header=BB0_106 Depth=1
	v_cmp_neq_f64_e32 vcc, 0, v[23:24]
	v_cmp_neq_f64_e64 s[8:9], 0, v[19:20]
                                        ; implicit-def: $vgpr25_vgpr26
                                        ; implicit-def: $vgpr27_vgpr28
	s_or_b64 s[8:9], vcc, s[8:9]
	s_and_saveexec_b64 s[34:35], s[6:7]
	s_xor_b64 s[6:7], exec, s[34:35]
	s_cbranch_execz .LBB0_149
; %bb.140:                              ;   in Loop: Header=BB0_106 Depth=1
	v_mov_b32_e32 v26, v24
	v_mov_b32_e32 v28, v20
	;; [unrolled: 1-line block ×4, first 2 shown]
	s_and_saveexec_b64 s[34:35], s[8:9]
	s_cbranch_execz .LBB0_148
; %bb.141:                              ;   in Loop: Header=BB0_106 Depth=1
	v_cmp_ngt_f64_e32 vcc, 0, v[19:20]
                                        ; implicit-def: $vgpr27_vgpr28
	s_and_saveexec_b64 s[36:37], vcc
	s_xor_b64 s[36:37], exec, s[36:37]
	s_cbranch_execz .LBB0_145
; %bb.142:                              ;   in Loop: Header=BB0_106 Depth=1
	v_cmp_ngt_f64_e32 vcc, 0, v[23:24]
	v_mov_b32_e32 v27, 0
	v_mov_b32_e32 v28, 0x7ff00000
	s_and_saveexec_b64 s[38:39], vcc
	s_cbranch_execz .LBB0_144
; %bb.143:                              ;   in Loop: Header=BB0_106 Depth=1
	v_div_scale_f64 v[25:26], s[40:41], v[17:18], v[17:18], v[23:24]
	v_div_scale_f64 v[31:32], vcc, v[23:24], v[17:18], v[23:24]
	v_rcp_f64_e32 v[27:28], v[25:26]
	v_fma_f64 v[29:30], -v[25:26], v[27:28], 1.0
	v_fma_f64 v[27:28], v[27:28], v[29:30], v[27:28]
	v_fma_f64 v[29:30], -v[25:26], v[27:28], 1.0
	v_fma_f64 v[27:28], v[27:28], v[29:30], v[27:28]
	v_mul_f64 v[29:30], v[31:32], v[27:28]
	v_fma_f64 v[25:26], -v[25:26], v[29:30], v[31:32]
	v_div_fmas_f64 v[25:26], v[25:26], v[27:28], v[29:30]
	v_div_fixup_f64 v[27:28], v[25:26], v[17:18], v[23:24]
.LBB0_144:                              ;   in Loop: Header=BB0_106 Depth=1
	s_or_b64 exec, exec, s[38:39]
.LBB0_145:                              ;   in Loop: Header=BB0_106 Depth=1
	s_or_saveexec_b64 s[36:37], s[36:37]
	v_mov_b32_e32 v25, 0
	v_mov_b32_e32 v26, 0xfff00000
	s_xor_b64 exec, exec, s[36:37]
	s_cbranch_execz .LBB0_147
; %bb.146:                              ;   in Loop: Header=BB0_106 Depth=1
	v_div_scale_f64 v[25:26], s[38:39], v[17:18], v[17:18], v[19:20]
	v_div_scale_f64 v[31:32], vcc, v[19:20], v[17:18], v[19:20]
	v_rcp_f64_e32 v[27:28], v[25:26]
	v_fma_f64 v[29:30], -v[25:26], v[27:28], 1.0
	v_fma_f64 v[27:28], v[27:28], v[29:30], v[27:28]
	v_fma_f64 v[29:30], -v[25:26], v[27:28], 1.0
	v_fma_f64 v[27:28], v[27:28], v[29:30], v[27:28]
	v_mul_f64 v[29:30], v[31:32], v[27:28]
	v_fma_f64 v[25:26], -v[25:26], v[29:30], v[31:32]
	v_div_fmas_f64 v[25:26], v[25:26], v[27:28], v[29:30]
	v_mov_b32_e32 v27, 0
	v_mov_b32_e32 v28, 0x7ff00000
	v_div_fixup_f64 v[25:26], v[25:26], v[17:18], v[19:20]
.LBB0_147:                              ;   in Loop: Header=BB0_106 Depth=1
	s_or_b64 exec, exec, s[36:37]
.LBB0_148:                              ;   in Loop: Header=BB0_106 Depth=1
	s_or_b64 exec, exec, s[34:35]
.LBB0_149:                              ;   in Loop: Header=BB0_106 Depth=1
	s_or_saveexec_b64 s[6:7], s[6:7]
	s_mov_b64 s[34:35], 0
	s_xor_b64 exec, exec, s[6:7]
	s_cbranch_execz .LBB0_159
; %bb.150:                              ;   in Loop: Header=BB0_106 Depth=1
	v_mov_b32_e32 v26, v24
	v_mov_b32_e32 v28, v20
	s_mov_b64 s[36:37], 0
	v_mov_b32_e32 v25, v23
	v_mov_b32_e32 v27, v19
	s_and_saveexec_b64 s[34:35], s[8:9]
	s_cbranch_execz .LBB0_158
; %bb.151:                              ;   in Loop: Header=BB0_106 Depth=1
	v_cmp_ngt_f64_e32 vcc, 0, v[19:20]
                                        ; implicit-def: $sgpr8_sgpr9
                                        ; implicit-def: $vgpr27_vgpr28
	s_and_saveexec_b64 s[36:37], vcc
	s_xor_b64 s[36:37], exec, s[36:37]
	s_cbranch_execz .LBB0_155
; %bb.152:                              ;   in Loop: Header=BB0_106 Depth=1
	v_cmp_ngt_f64_e32 vcc, 0, v[23:24]
	v_mov_b32_e32 v27, 0
	v_mov_b32_e32 v28, 0x7ff00000
	s_mov_b64 s[8:9], 0
	s_and_saveexec_b64 s[38:39], vcc
	s_cbranch_execz .LBB0_154
; %bb.153:                              ;   in Loop: Header=BB0_106 Depth=1
	v_div_scale_f64 v[25:26], s[40:41], v[17:18], v[17:18], v[23:24]
	v_div_scale_f64 v[31:32], vcc, v[23:24], v[17:18], v[23:24]
	s_mov_b64 s[8:9], exec
	v_rcp_f64_e32 v[27:28], v[25:26]
	v_fma_f64 v[29:30], -v[25:26], v[27:28], 1.0
	v_fma_f64 v[27:28], v[27:28], v[29:30], v[27:28]
	v_fma_f64 v[29:30], -v[25:26], v[27:28], 1.0
	v_fma_f64 v[27:28], v[27:28], v[29:30], v[27:28]
	v_mul_f64 v[29:30], v[31:32], v[27:28]
	v_fma_f64 v[25:26], -v[25:26], v[29:30], v[31:32]
	v_div_fmas_f64 v[25:26], v[25:26], v[27:28], v[29:30]
	v_div_fixup_f64 v[27:28], v[25:26], v[17:18], v[23:24]
.LBB0_154:                              ;   in Loop: Header=BB0_106 Depth=1
	s_or_b64 exec, exec, s[38:39]
.LBB0_155:                              ;   in Loop: Header=BB0_106 Depth=1
	s_andn2_saveexec_b64 s[36:37], s[36:37]
	s_cbranch_execz .LBB0_157
; %bb.156:                              ;   in Loop: Header=BB0_106 Depth=1
	v_div_scale_f64 v[25:26], s[38:39], v[21:22], v[21:22], v[19:20]
	v_div_scale_f64 v[31:32], vcc, v[19:20], v[21:22], v[19:20]
	s_or_b64 s[8:9], s[8:9], exec
	v_rcp_f64_e32 v[27:28], v[25:26]
	v_fma_f64 v[29:30], -v[25:26], v[27:28], 1.0
	v_fma_f64 v[27:28], v[27:28], v[29:30], v[27:28]
	v_fma_f64 v[29:30], -v[25:26], v[27:28], 1.0
	v_fma_f64 v[27:28], v[27:28], v[29:30], v[27:28]
	v_mul_f64 v[29:30], v[31:32], v[27:28]
	v_fma_f64 v[25:26], -v[25:26], v[29:30], v[31:32]
	v_div_fmas_f64 v[25:26], v[25:26], v[27:28], v[29:30]
	v_div_fixup_f64 v[27:28], v[25:26], v[21:22], v[19:20]
.LBB0_157:                              ;   in Loop: Header=BB0_106 Depth=1
	s_or_b64 exec, exec, s[36:37]
	v_mov_b32_e32 v25, 0
	v_mov_b32_e32 v26, 0xfff00000
	s_and_b64 s[36:37], s[8:9], exec
.LBB0_158:                              ;   in Loop: Header=BB0_106 Depth=1
	s_or_b64 exec, exec, s[34:35]
	s_and_b64 s[34:35], s[36:37], exec
.LBB0_159:                              ;   in Loop: Header=BB0_106 Depth=1
	s_or_b64 exec, exec, s[6:7]
	s_and_b64 s[8:9], s[34:35], exec
.LBB0_160:                              ;   in Loop: Header=BB0_106 Depth=1
	s_or_b64 exec, exec, s[30:31]
.LBB0_161:                              ;   in Loop: Header=BB0_106 Depth=1
	s_andn2_saveexec_b64 s[28:29], s[28:29]
	s_cbranch_execz .LBB0_167
; %bb.162:                              ;   in Loop: Header=BB0_106 Depth=1
	v_cmp_gt_f64_e32 vcc, 0, v[21:22]
	v_cmp_ngt_f64_e64 s[6:7], 0, v[19:20]
	v_mov_b32_e32 v28, v22
	v_mov_b32_e32 v26, v18
	;; [unrolled: 1-line block ×4, first 2 shown]
	s_and_saveexec_b64 s[30:31], s[6:7]
	s_cbranch_execz .LBB0_166
; %bb.163:                              ;   in Loop: Header=BB0_106 Depth=1
	v_cmp_gt_f64_e64 s[6:7], 0, v[23:24]
	v_mov_b32_e32 v26, v22
	v_mov_b32_e32 v28, v18
	;; [unrolled: 1-line block ×4, first 2 shown]
	s_and_saveexec_b64 s[34:35], s[6:7]
; %bb.164:                              ;   in Loop: Header=BB0_106 Depth=1
	v_cndmask_b32_e32 v26, v18, v22, vcc
	v_cndmask_b32_e32 v25, v17, v21, vcc
	v_mov_b32_e32 v28, v26
	v_mov_b32_e32 v27, v25
; %bb.165:                              ;   in Loop: Header=BB0_106 Depth=1
	s_or_b64 exec, exec, s[34:35]
.LBB0_166:                              ;   in Loop: Header=BB0_106 Depth=1
	s_or_b64 exec, exec, s[30:31]
	v_cndmask_b32_e32 v32, v24, v20, vcc
	v_cndmask_b32_e32 v31, v23, v19, vcc
	v_div_scale_f64 v[38:39], s[6:7], v[25:26], v[25:26], v[31:32]
	v_cndmask_b32_e32 v30, v20, v24, vcc
	v_cndmask_b32_e32 v29, v19, v23, vcc
	s_andn2_b64 s[8:9], s[8:9], exec
	v_rcp_f64_e32 v[40:41], v[38:39]
	v_fma_f64 v[42:43], -v[38:39], v[40:41], 1.0
	v_fma_f64 v[40:41], v[40:41], v[42:43], v[40:41]
	v_fma_f64 v[42:43], -v[38:39], v[40:41], 1.0
	v_fma_f64 v[40:41], v[40:41], v[42:43], v[40:41]
	v_div_scale_f64 v[42:43], vcc, v[31:32], v[25:26], v[31:32]
	v_mul_f64 v[44:45], v[42:43], v[40:41]
	v_fma_f64 v[38:39], -v[38:39], v[44:45], v[42:43]
	s_nop 1
	v_div_fmas_f64 v[38:39], v[38:39], v[40:41], v[44:45]
	v_div_fixup_f64 v[25:26], v[38:39], v[25:26], v[31:32]
	v_div_scale_f64 v[31:32], s[6:7], v[27:28], v[27:28], v[29:30]
	v_rcp_f64_e32 v[38:39], v[31:32]
	v_fma_f64 v[40:41], -v[31:32], v[38:39], 1.0
	v_fma_f64 v[38:39], v[38:39], v[40:41], v[38:39]
	v_fma_f64 v[40:41], -v[31:32], v[38:39], 1.0
	v_fma_f64 v[38:39], v[38:39], v[40:41], v[38:39]
	v_div_scale_f64 v[40:41], vcc, v[29:30], v[27:28], v[29:30]
	v_mul_f64 v[42:43], v[40:41], v[38:39]
	v_fma_f64 v[31:32], -v[31:32], v[42:43], v[40:41]
	s_nop 1
	v_div_fmas_f64 v[31:32], v[31:32], v[38:39], v[42:43]
	v_div_fixup_f64 v[27:28], v[31:32], v[27:28], v[29:30]
.LBB0_167:                              ;   in Loop: Header=BB0_106 Depth=1
	s_or_b64 exec, exec, s[28:29]
	v_mov_b32_e32 v31, 0
	v_mov_b32_e32 v29, 0
	v_mov_b32_e32 v32, 0x7ff80000
	v_mov_b32_e32 v30, 0x7ff80000
	s_and_saveexec_b64 s[6:7], s[8:9]
	s_cbranch_execz .LBB0_173
; %bb.168:                              ;   in Loop: Header=BB0_106 Depth=1
	v_cmp_ngt_f64_e32 vcc, 0, v[19:20]
                                        ; implicit-def: $vgpr29_vgpr30
	s_and_saveexec_b64 s[28:29], vcc
	s_xor_b64 s[28:29], exec, s[28:29]
	s_cbranch_execz .LBB0_170
; %bb.169:                              ;   in Loop: Header=BB0_106 Depth=1
	v_div_scale_f64 v[17:18], s[30:31], v[21:22], v[21:22], v[23:24]
	v_div_scale_f64 v[31:32], vcc, v[23:24], v[21:22], v[23:24]
	v_rcp_f64_e32 v[19:20], v[17:18]
	v_fma_f64 v[29:30], -v[17:18], v[19:20], 1.0
	v_fma_f64 v[19:20], v[19:20], v[29:30], v[19:20]
	v_fma_f64 v[29:30], -v[17:18], v[19:20], 1.0
	v_fma_f64 v[19:20], v[19:20], v[29:30], v[19:20]
	v_mul_f64 v[29:30], v[31:32], v[19:20]
	v_fma_f64 v[17:18], -v[17:18], v[29:30], v[31:32]
	v_div_fmas_f64 v[17:18], v[17:18], v[19:20], v[29:30]
                                        ; implicit-def: $vgpr19_vgpr20
	v_div_fixup_f64 v[29:30], v[17:18], v[21:22], v[23:24]
                                        ; implicit-def: $vgpr17_vgpr18
.LBB0_170:                              ;   in Loop: Header=BB0_106 Depth=1
	s_andn2_saveexec_b64 s[28:29], s[28:29]
	s_cbranch_execz .LBB0_172
; %bb.171:                              ;   in Loop: Header=BB0_106 Depth=1
	v_div_scale_f64 v[21:22], s[30:31], v[17:18], v[17:18], v[19:20]
	v_div_scale_f64 v[31:32], vcc, v[19:20], v[17:18], v[19:20]
	v_rcp_f64_e32 v[23:24], v[21:22]
	v_fma_f64 v[29:30], -v[21:22], v[23:24], 1.0
	v_fma_f64 v[23:24], v[23:24], v[29:30], v[23:24]
	v_fma_f64 v[29:30], -v[21:22], v[23:24], 1.0
	v_fma_f64 v[23:24], v[23:24], v[29:30], v[23:24]
	v_mul_f64 v[29:30], v[31:32], v[23:24]
	v_fma_f64 v[21:22], -v[21:22], v[29:30], v[31:32]
	v_div_fmas_f64 v[21:22], v[21:22], v[23:24], v[29:30]
	v_div_fixup_f64 v[29:30], v[21:22], v[17:18], v[19:20]
.LBB0_172:                              ;   in Loop: Header=BB0_106 Depth=1
	s_or_b64 exec, exec, s[28:29]
	v_add_f64 v[17:18], v[13:14], s[22:23]
	v_add_f64 v[19:20], v[13:14], -v[29:30]
	v_max_f64 v[21:22], v[0:1], v[0:1]
	v_max_f64 v[23:24], v[2:3], v[2:3]
	v_max_f64 v[17:18], v[17:18], v[21:22]
	v_min_f64 v[19:20], v[19:20], v[23:24]
	v_cmp_nle_f64_e32 vcc, v[17:18], v[19:20]
	v_cndmask_b32_e32 v30, v18, v34, vcc
	v_cndmask_b32_e64 v29, v17, 0, vcc
	v_cndmask_b32_e32 v32, v20, v34, vcc
	v_cndmask_b32_e64 v31, v19, 0, vcc
.LBB0_173:                              ;   in Loop: Header=BB0_106 Depth=1
	s_or_b64 exec, exec, s[6:7]
	v_add_f64 v[17:18], v[13:14], -v[27:28]
	v_add_f64 v[19:20], v[13:14], -v[25:26]
	v_max_f64 v[21:22], v[0:1], v[0:1]
	v_max_f64 v[23:24], v[2:3], v[2:3]
	;; [unrolled: 1-line block ×3, first 2 shown]
	v_min_f64 v[19:20], v[19:20], v[23:24]
	v_mul_f64 v[21:22], v[15:16], s[24:25]
	v_cmp_nle_f64_e32 vcc, v[17:18], v[19:20]
	v_cndmask_b32_e64 v22, v22, 0, s[4:5]
	v_cndmask_b32_e64 v21, v21, 0, s[4:5]
	v_cndmask_b32_e32 v16, v18, v34, vcc
	v_cndmask_b32_e64 v15, v17, 0, vcc
	v_cndmask_b32_e32 v18, v20, v34, vcc
	v_cndmask_b32_e64 v17, v19, 0, vcc
	v_add_f64 v[19:20], v[15:16], v[17:18]
	v_add_f64 v[23:24], v[17:18], -v[15:16]
	v_cmp_o_f64_e32 vcc, v[19:20], v[19:20]
	v_cmp_gt_f64_e64 s[4:5], v[23:24], v[21:22]
	s_and_b64 s[6:7], vcc, s[4:5]
	s_xor_b64 s[4:5], s[6:7], -1
	s_and_saveexec_b64 s[28:29], s[4:5]
	s_cbranch_execnz .LBB0_179
; %bb.174:                              ;   in Loop: Header=BB0_106 Depth=1
	s_or_b64 exec, exec, s[28:29]
	s_and_saveexec_b64 s[4:5], s[6:7]
	s_cbranch_execnz .LBB0_180
.LBB0_175:                              ;   in Loop: Header=BB0_106 Depth=1
	s_or_b64 exec, exec, s[4:5]
	v_cmp_o_f64_e32 vcc, v[19:20], v[19:20]
	s_and_saveexec_b64 s[4:5], vcc
	s_cbranch_execz .LBB0_177
.LBB0_176:                              ;   in Loop: Header=BB0_106 Depth=1
	v_mov_b32_e32 v12, v36
	buffer_store_dword v16, v37, s[0:3], 0 offen offset:4
	buffer_store_dword v15, v37, s[0:3], 0 offen
	buffer_store_dword v18, v37, s[0:3], 0 offen offset:12
	buffer_store_dword v17, v37, s[0:3], 0 offen offset:8
.LBB0_177:                              ;   in Loop: Header=BB0_106 Depth=1
	s_or_b64 exec, exec, s[4:5]
	v_add_f64 v[0:1], v[29:30], v[31:32]
	v_cmp_o_f64_e32 vcc, v[0:1], v[0:1]
	s_and_b64 s[6:7], vcc, s[8:9]
	s_and_saveexec_b64 s[4:5], s[6:7]
	s_cbranch_execz .LBB0_104
; %bb.178:                              ;   in Loop: Header=BB0_106 Depth=1
	v_add_u32_e32 v0, 1, v12
	v_lshl_add_u32 v1, v12, 4, v33
	v_mov_b32_e32 v12, v0
	buffer_store_dword v30, v1, s[0:3], 0 offen offset:20
	buffer_store_dword v29, v1, s[0:3], 0 offen offset:16
	;; [unrolled: 1-line block ×4, first 2 shown]
	s_branch .LBB0_104
.LBB0_179:                              ;   in Loop: Header=BB0_106 Depth=1
	v_add_f64 v[23:24], v[29:30], v[31:32]
	v_add_f64 v[25:26], v[31:32], -v[29:30]
	s_andn2_b64 s[6:7], s[6:7], exec
	v_cmp_o_f64_e32 vcc, v[23:24], v[23:24]
	v_cmp_gt_f64_e64 s[4:5], v[25:26], v[21:22]
	s_and_b64 s[4:5], vcc, s[4:5]
	s_and_b64 s[4:5], s[4:5], exec
	s_or_b64 s[6:7], s[6:7], s[4:5]
	s_or_b64 exec, exec, s[28:29]
	s_and_saveexec_b64 s[4:5], s[6:7]
	s_cbranch_execz .LBB0_175
.LBB0_180:                              ;   in Loop: Header=BB0_106 Depth=1
	v_add_f64 v[19:20], v[0:1], v[13:14]
	v_mov_b32_e32 v30, v14
	v_mov_b32_e32 v32, v3
	;; [unrolled: 1-line block ×4, first 2 shown]
	s_or_b64 s[8:9], s[8:9], exec
	v_mov_b32_e32 v29, v13
	v_mov_b32_e32 v31, v2
	;; [unrolled: 1-line block ×4, first 2 shown]
	s_or_b64 exec, exec, s[4:5]
	v_cmp_o_f64_e32 vcc, v[19:20], v[19:20]
	s_and_saveexec_b64 s[4:5], vcc
	s_cbranch_execnz .LBB0_176
	s_branch .LBB0_177
.LBB0_181:
	s_or_b64 exec, exec, s[10:11]
	s_branch .LBB0_261
.LBB0_182:
	s_mov_b32 s4, 0
	s_mov_b32 s5, 0xbef00000
	v_fma_f64 v[6:7], v[6:7], s[4:5], -2.0
	s_waitcnt vmcnt(3)
	v_mov_b32_e32 v0, s17
	buffer_store_dword v0, off, s[0:3], 0 offset:4
	v_mov_b32_e32 v0, s16
	buffer_store_dword v0, off, s[0:3], 0
	v_mov_b32_e32 v0, s19
	buffer_store_dword v0, off, s[0:3], 0 offset:12
	v_mov_b32_e32 v0, s18
	s_brev_b32 s16, 5
	s_mov_b32 s18, 0
	s_brev_b32 s20, 1
	v_mov_b32_e32 v35, 0
	s_mov_b64 s[10:11], 0
	v_mov_b32_e32 v32, 0
	s_mov_b32 s17, 0x3eb0c6f7
	s_mov_b32 s19, 0xfff00000
	;; [unrolled: 1-line block ×3, first 2 shown]
	v_mov_b32_e32 v33, 0x7ff80000
	v_mov_b32_e32 v34, v8
	;; [unrolled: 1-line block ×3, first 2 shown]
	buffer_store_dword v0, off, s[0:3], 0 offset:8
	s_branch .LBB0_185
.LBB0_183:                              ;   in Loop: Header=BB0_185 Depth=1
	s_or_b64 exec, exec, s[4:5]
	v_mov_b32_e32 v17, v9
	v_mov_b32_e32 v31, v34
.LBB0_184:                              ;   in Loop: Header=BB0_185 Depth=1
	s_or_b64 exec, exec, s[22:23]
	v_cmp_eq_u32_e32 vcc, -1, v10
	s_or_b64 s[10:11], vcc, s[10:11]
	v_mov_b32_e32 v34, v31
	v_mov_b32_e32 v9, v17
	;; [unrolled: 1-line block ×3, first 2 shown]
	s_andn2_b64 exec, exec, s[10:11]
	s_cbranch_execz .LBB0_260
.LBB0_185:                              ; =>This Inner Loop Header: Depth=1
	v_lshl_add_u32 v36, v35, 4, v32
	buffer_load_dword v0, v36, s[0:3], 0 offen
	buffer_load_dword v1, v36, s[0:3], 0 offen offset:4
	buffer_load_dword v2, v36, s[0:3], 0 offen offset:8
	;; [unrolled: 1-line block ×3, first 2 shown]
	s_mov_b64 s[6:7], 0
                                        ; implicit-def: $vgpr17
                                        ; implicit-def: $vgpr31
	s_waitcnt vmcnt(0)
	v_add_f64 v[15:16], v[0:1], v[2:3]
	v_add_f64 v[13:14], v[2:3], -v[0:1]
	v_cmp_u_f64_e64 s[4:5], v[15:16], v[15:16]
	v_cmp_o_f64_e32 vcc, v[15:16], v[15:16]
	v_mul_f64 v[11:12], v[15:16], 0.5
	s_and_saveexec_b64 s[8:9], vcc
	s_xor_b64 s[8:9], exec, s[8:9]
	s_cbranch_execnz .LBB0_188
; %bb.186:                              ;   in Loop: Header=BB0_185 Depth=1
	s_andn2_saveexec_b64 s[8:9], s[8:9]
	s_cbranch_execnz .LBB0_199
.LBB0_187:                              ;   in Loop: Header=BB0_185 Depth=1
	s_or_b64 exec, exec, s[8:9]
	v_add_u32_e32 v10, -1, v35
	s_and_saveexec_b64 s[22:23], s[6:7]
	s_cbranch_execz .LBB0_184
	s_branch .LBB0_200
.LBB0_188:                              ;   in Loop: Header=BB0_185 Depth=1
	v_mul_f64 v[11:12], v[15:16], 0.5
	s_mov_b64 s[6:7], -1
	s_mov_b64 s[24:25], 0
	v_mul_f64 v[15:16], |v[11:12]|, s[16:17]
	v_cmp_nle_f64_e32 vcc, v[13:14], v[15:16]
	s_and_saveexec_b64 s[22:23], vcc
	s_cbranch_execz .LBB0_196
; %bb.189:                              ;   in Loop: Header=BB0_185 Depth=1
	v_add_f64 v[21:22], v[0:1], -1.0
	v_add_f64 v[19:20], v[2:3], -1.0
	v_cmp_le_f64_e32 vcc, 0, v[21:22]
	v_mul_f64 v[15:16], v[21:22], v[21:22]
	v_mul_f64 v[17:18], v[19:20], v[19:20]
	s_and_saveexec_b64 s[6:7], vcc
	s_xor_b64 s[6:7], exec, s[6:7]
	s_cbranch_execz .LBB0_191
; %bb.190:                              ;   in Loop: Header=BB0_185 Depth=1
	v_mul_f64 v[17:18], v[21:22], v[21:22]
	v_mul_f64 v[15:16], v[19:20], v[19:20]
                                        ; implicit-def: $vgpr19_vgpr20
.LBB0_191:                              ;   in Loop: Header=BB0_185 Depth=1
	s_andn2_saveexec_b64 s[6:7], s[6:7]
	s_cbranch_execz .LBB0_195
; %bb.192:                              ;   in Loop: Header=BB0_185 Depth=1
	v_cmp_ge_f64_e32 vcc, 0, v[19:20]
	s_and_saveexec_b64 s[24:25], vcc
	s_xor_b64 s[24:25], exec, s[24:25]
	s_andn2_saveexec_b64 s[24:25], s[24:25]
	s_cbranch_execz .LBB0_194
; %bb.193:                              ;   in Loop: Header=BB0_185 Depth=1
	v_max_f64 v[15:16], v[15:16], v[17:18]
	v_mov_b32_e32 v17, 0
	v_mov_b32_e32 v18, 0
.LBB0_194:                              ;   in Loop: Header=BB0_185 Depth=1
	s_or_b64 exec, exec, s[24:25]
.LBB0_195:                              ;   in Loop: Header=BB0_185 Depth=1
	s_or_b64 exec, exec, s[6:7]
	v_mul_f64 v[19:20], v[4:5], v[0:1]
	v_mul_f64 v[21:22], v[4:5], v[2:3]
	s_mov_b64 s[24:25], exec
	v_min_f64 v[23:24], v[19:20], v[21:22]
	v_max_f64 v[19:20], v[19:20], v[21:22]
	v_add_f64 v[17:18], v[23:24], v[17:18]
	v_add_f64 v[15:16], v[19:20], v[15:16]
	;; [unrolled: 1-line block ×3, first 2 shown]
	v_add_f64 v[15:16], v[15:16], -v[17:18]
	v_cmp_u_f64_e32 vcc, v[19:20], v[19:20]
	v_cmp_ge_f64_e64 s[6:7], s[16:17], v[15:16]
	s_or_b64 s[6:7], vcc, s[6:7]
	s_orn2_b64 s[6:7], s[6:7], exec
.LBB0_196:                              ;   in Loop: Header=BB0_185 Depth=1
	s_or_b64 exec, exec, s[22:23]
                                        ; implicit-def: $vgpr17
                                        ; implicit-def: $vgpr31
	s_and_saveexec_b64 s[22:23], s[6:7]
	s_xor_b64 s[6:7], exec, s[22:23]
	s_cbranch_execz .LBB0_198
; %bb.197:                              ;   in Loop: Header=BB0_185 Depth=1
	v_ashrrev_i32_e32 v10, 31, v9
	v_lshlrev_b64 v[15:16], 4, v[9:10]
	v_mov_b32_e32 v10, s13
	v_add_co_u32_e32 v15, vcc, s12, v15
	v_addc_co_u32_e32 v16, vcc, v10, v16, vcc
	v_add_u32_e32 v17, 0x10000, v9
	global_store_dwordx4 v[15:16], v[0:3], off
	s_andn2_b64 s[24:25], s[24:25], exec
	v_mov_b32_e32 v31, v17
.LBB0_198:                              ;   in Loop: Header=BB0_185 Depth=1
	s_or_b64 exec, exec, s[6:7]
	s_and_b64 s[6:7], s[24:25], exec
	s_andn2_saveexec_b64 s[8:9], s[8:9]
	s_cbranch_execz .LBB0_187
.LBB0_199:                              ;   in Loop: Header=BB0_185 Depth=1
	s_or_b64 s[6:7], s[6:7], exec
	s_or_b64 exec, exec, s[8:9]
	v_add_u32_e32 v10, -1, v35
	s_and_saveexec_b64 s[22:23], s[6:7]
	s_cbranch_execz .LBB0_184
.LBB0_200:                              ;   in Loop: Header=BB0_185 Depth=1
	v_add_f64 v[19:20], v[11:12], -1.0
                                        ; implicit-def: $vgpr17_vgpr18
	v_cmp_le_f64_e32 vcc, 0, v[19:20]
	v_mul_f64 v[15:16], v[19:20], v[19:20]
	s_and_saveexec_b64 s[6:7], vcc
	s_xor_b64 s[6:7], exec, s[6:7]
; %bb.201:                              ;   in Loop: Header=BB0_185 Depth=1
	v_mul_f64 v[17:18], v[19:20], v[19:20]
                                        ; implicit-def: $vgpr19_vgpr20
                                        ; implicit-def: $vgpr15_vgpr16
; %bb.202:                              ;   in Loop: Header=BB0_185 Depth=1
	s_or_saveexec_b64 s[6:7], s[6:7]
	v_mov_b32_e32 v24, v18
	v_mov_b32_e32 v23, v17
	s_xor_b64 exec, exec, s[6:7]
	s_cbranch_execz .LBB0_204
; %bb.203:                              ;   in Loop: Header=BB0_185 Depth=1
	v_cmp_ge_f64_e32 vcc, 0, v[19:20]
	v_mov_b32_e32 v24, v16
	v_mov_b32_e32 v23, v15
	v_cndmask_b32_e32 v18, 0, v16, vcc
	v_cndmask_b32_e32 v17, 0, v15, vcc
.LBB0_204:                              ;   in Loop: Header=BB0_185 Depth=1
	s_or_b64 exec, exec, s[6:7]
	v_add_f64 v[15:16], v[0:1], v[0:1]
	v_add_f64 v[19:20], v[2:3], v[2:3]
                                        ; implicit-def: $sgpr8_sgpr9
                                        ; implicit-def: $vgpr25_vgpr26
	v_min_f64 v[21:22], v[15:16], v[19:20]
	v_max_f64 v[19:20], v[15:16], v[19:20]
	v_add_f64 v[15:16], v[6:7], v[21:22]
	v_add_f64 v[19:20], v[6:7], v[19:20]
	v_fma_f64 v[21:22], v[4:5], v[11:12], v[17:18]
	v_fma_f64 v[17:18], v[4:5], v[11:12], v[23:24]
                                        ; implicit-def: $vgpr23_vgpr24
	v_cmp_ge_f64_e32 vcc, 0, v[15:16]
	v_cmp_le_f64_e64 s[6:7], 0, v[19:20]
	s_and_b64 s[6:7], vcc, s[6:7]
	s_and_saveexec_b64 s[24:25], s[6:7]
	s_xor_b64 s[24:25], exec, s[24:25]
	s_cbranch_execz .LBB0_240
; %bb.205:                              ;   in Loop: Header=BB0_185 Depth=1
	v_cmp_eq_f64_e64 s[8:9], 0, v[15:16]
	v_cmp_neq_f64_e32 vcc, 0, v[19:20]
	v_cmp_eq_f64_e64 s[6:7], 0, v[19:20]
                                        ; implicit-def: $vgpr23_vgpr24
                                        ; implicit-def: $vgpr25_vgpr26
	s_and_saveexec_b64 s[26:27], s[8:9]
	s_xor_b64 s[26:27], exec, s[26:27]
	s_cbranch_execz .LBB0_217
; %bb.206:                              ;   in Loop: Header=BB0_185 Depth=1
	v_mov_b32_e32 v23, 0
	v_mov_b32_e32 v25, 0
	;; [unrolled: 1-line block ×4, first 2 shown]
	s_and_saveexec_b64 s[28:29], vcc
	s_cbranch_execz .LBB0_216
; %bb.207:                              ;   in Loop: Header=BB0_185 Depth=1
	v_cmp_neq_f64_e32 vcc, 0, v[21:22]
	v_cmp_neq_f64_e64 s[8:9], 0, v[17:18]
	v_mov_b32_e32 v24, v22
	v_mov_b32_e32 v26, v18
	;; [unrolled: 1-line block ×4, first 2 shown]
	s_or_b64 s[30:31], vcc, s[8:9]
	s_and_saveexec_b64 s[8:9], s[30:31]
	s_cbranch_execz .LBB0_215
; %bb.208:                              ;   in Loop: Header=BB0_185 Depth=1
	v_cmp_ngt_f64_e32 vcc, 0, v[17:18]
                                        ; implicit-def: $vgpr23_vgpr24
	s_and_saveexec_b64 s[30:31], vcc
	s_xor_b64 s[30:31], exec, s[30:31]
	s_cbranch_execz .LBB0_212
; %bb.209:                              ;   in Loop: Header=BB0_185 Depth=1
	v_cmp_ngt_f64_e32 vcc, 0, v[21:22]
	v_mov_b32_e32 v23, 0
	v_mov_b32_e32 v24, 0xfff00000
	s_and_saveexec_b64 s[34:35], vcc
	s_cbranch_execz .LBB0_211
; %bb.210:                              ;   in Loop: Header=BB0_185 Depth=1
	v_div_scale_f64 v[23:24], s[36:37], v[19:20], v[19:20], v[21:22]
	v_div_scale_f64 v[29:30], vcc, v[21:22], v[19:20], v[21:22]
	v_rcp_f64_e32 v[25:26], v[23:24]
	v_fma_f64 v[27:28], -v[23:24], v[25:26], 1.0
	v_fma_f64 v[25:26], v[25:26], v[27:28], v[25:26]
	v_fma_f64 v[27:28], -v[23:24], v[25:26], 1.0
	v_fma_f64 v[25:26], v[25:26], v[27:28], v[25:26]
	v_mul_f64 v[27:28], v[29:30], v[25:26]
	v_fma_f64 v[23:24], -v[23:24], v[27:28], v[29:30]
	v_div_fmas_f64 v[23:24], v[23:24], v[25:26], v[27:28]
	v_div_fixup_f64 v[23:24], v[23:24], v[19:20], v[21:22]
.LBB0_211:                              ;   in Loop: Header=BB0_185 Depth=1
	s_or_b64 exec, exec, s[34:35]
.LBB0_212:                              ;   in Loop: Header=BB0_185 Depth=1
	s_or_saveexec_b64 s[30:31], s[30:31]
	v_mov_b32_e32 v25, 0
	v_mov_b32_e32 v26, 0x7ff00000
	s_xor_b64 exec, exec, s[30:31]
	s_cbranch_execz .LBB0_214
; %bb.213:                              ;   in Loop: Header=BB0_185 Depth=1
	v_div_scale_f64 v[23:24], s[34:35], v[19:20], v[19:20], v[17:18]
	v_div_scale_f64 v[29:30], vcc, v[17:18], v[19:20], v[17:18]
	v_rcp_f64_e32 v[25:26], v[23:24]
	v_fma_f64 v[27:28], -v[23:24], v[25:26], 1.0
	v_fma_f64 v[25:26], v[25:26], v[27:28], v[25:26]
	v_fma_f64 v[27:28], -v[23:24], v[25:26], 1.0
	v_fma_f64 v[25:26], v[25:26], v[27:28], v[25:26]
	v_mul_f64 v[27:28], v[29:30], v[25:26]
	v_fma_f64 v[23:24], -v[23:24], v[27:28], v[29:30]
	v_div_fmas_f64 v[23:24], v[23:24], v[25:26], v[27:28]
	v_div_fixup_f64 v[25:26], v[23:24], v[19:20], v[17:18]
	v_mov_b32_e32 v23, 0
	v_mov_b32_e32 v24, 0xfff00000
.LBB0_214:                              ;   in Loop: Header=BB0_185 Depth=1
	s_or_b64 exec, exec, s[30:31]
.LBB0_215:                              ;   in Loop: Header=BB0_185 Depth=1
	s_or_b64 exec, exec, s[8:9]
.LBB0_216:                              ;   in Loop: Header=BB0_185 Depth=1
	s_or_b64 exec, exec, s[28:29]
.LBB0_217:                              ;   in Loop: Header=BB0_185 Depth=1
	s_or_saveexec_b64 s[26:27], s[26:27]
	s_mov_b64 s[8:9], 0
	s_xor_b64 exec, exec, s[26:27]
	s_cbranch_execz .LBB0_239
; %bb.218:                              ;   in Loop: Header=BB0_185 Depth=1
	v_cmp_neq_f64_e32 vcc, 0, v[21:22]
	v_cmp_neq_f64_e64 s[8:9], 0, v[17:18]
                                        ; implicit-def: $vgpr23_vgpr24
                                        ; implicit-def: $vgpr25_vgpr26
	s_or_b64 s[8:9], vcc, s[8:9]
	s_and_saveexec_b64 s[28:29], s[6:7]
	s_xor_b64 s[6:7], exec, s[28:29]
	s_cbranch_execz .LBB0_228
; %bb.219:                              ;   in Loop: Header=BB0_185 Depth=1
	v_mov_b32_e32 v24, v22
	v_mov_b32_e32 v26, v18
	;; [unrolled: 1-line block ×4, first 2 shown]
	s_and_saveexec_b64 s[28:29], s[8:9]
	s_cbranch_execz .LBB0_227
; %bb.220:                              ;   in Loop: Header=BB0_185 Depth=1
	v_cmp_ngt_f64_e32 vcc, 0, v[17:18]
                                        ; implicit-def: $vgpr25_vgpr26
	s_and_saveexec_b64 s[30:31], vcc
	s_xor_b64 s[30:31], exec, s[30:31]
	s_cbranch_execz .LBB0_224
; %bb.221:                              ;   in Loop: Header=BB0_185 Depth=1
	v_cmp_ngt_f64_e32 vcc, 0, v[21:22]
	v_mov_b32_e32 v25, 0
	v_mov_b32_e32 v26, 0x7ff00000
	s_and_saveexec_b64 s[34:35], vcc
	s_cbranch_execz .LBB0_223
; %bb.222:                              ;   in Loop: Header=BB0_185 Depth=1
	v_div_scale_f64 v[23:24], s[36:37], v[15:16], v[15:16], v[21:22]
	v_div_scale_f64 v[29:30], vcc, v[21:22], v[15:16], v[21:22]
	v_rcp_f64_e32 v[25:26], v[23:24]
	v_fma_f64 v[27:28], -v[23:24], v[25:26], 1.0
	v_fma_f64 v[25:26], v[25:26], v[27:28], v[25:26]
	v_fma_f64 v[27:28], -v[23:24], v[25:26], 1.0
	v_fma_f64 v[25:26], v[25:26], v[27:28], v[25:26]
	v_mul_f64 v[27:28], v[29:30], v[25:26]
	v_fma_f64 v[23:24], -v[23:24], v[27:28], v[29:30]
	v_div_fmas_f64 v[23:24], v[23:24], v[25:26], v[27:28]
	v_div_fixup_f64 v[25:26], v[23:24], v[15:16], v[21:22]
.LBB0_223:                              ;   in Loop: Header=BB0_185 Depth=1
	s_or_b64 exec, exec, s[34:35]
.LBB0_224:                              ;   in Loop: Header=BB0_185 Depth=1
	s_or_saveexec_b64 s[30:31], s[30:31]
	v_mov_b32_e32 v23, 0
	v_mov_b32_e32 v24, 0xfff00000
	s_xor_b64 exec, exec, s[30:31]
	s_cbranch_execz .LBB0_226
; %bb.225:                              ;   in Loop: Header=BB0_185 Depth=1
	v_div_scale_f64 v[23:24], s[34:35], v[15:16], v[15:16], v[17:18]
	v_div_scale_f64 v[29:30], vcc, v[17:18], v[15:16], v[17:18]
	v_rcp_f64_e32 v[25:26], v[23:24]
	v_fma_f64 v[27:28], -v[23:24], v[25:26], 1.0
	v_fma_f64 v[25:26], v[25:26], v[27:28], v[25:26]
	v_fma_f64 v[27:28], -v[23:24], v[25:26], 1.0
	v_fma_f64 v[25:26], v[25:26], v[27:28], v[25:26]
	v_mul_f64 v[27:28], v[29:30], v[25:26]
	v_fma_f64 v[23:24], -v[23:24], v[27:28], v[29:30]
	v_div_fmas_f64 v[23:24], v[23:24], v[25:26], v[27:28]
	v_mov_b32_e32 v25, 0
	v_mov_b32_e32 v26, 0x7ff00000
	v_div_fixup_f64 v[23:24], v[23:24], v[15:16], v[17:18]
.LBB0_226:                              ;   in Loop: Header=BB0_185 Depth=1
	s_or_b64 exec, exec, s[30:31]
.LBB0_227:                              ;   in Loop: Header=BB0_185 Depth=1
	s_or_b64 exec, exec, s[28:29]
.LBB0_228:                              ;   in Loop: Header=BB0_185 Depth=1
	s_or_saveexec_b64 s[6:7], s[6:7]
	s_mov_b64 s[28:29], 0
	s_xor_b64 exec, exec, s[6:7]
	s_cbranch_execz .LBB0_238
; %bb.229:                              ;   in Loop: Header=BB0_185 Depth=1
	v_mov_b32_e32 v24, v22
	v_mov_b32_e32 v26, v18
	s_mov_b64 s[30:31], 0
	v_mov_b32_e32 v23, v21
	v_mov_b32_e32 v25, v17
	s_and_saveexec_b64 s[28:29], s[8:9]
	s_cbranch_execz .LBB0_237
; %bb.230:                              ;   in Loop: Header=BB0_185 Depth=1
	v_cmp_ngt_f64_e32 vcc, 0, v[17:18]
                                        ; implicit-def: $sgpr8_sgpr9
                                        ; implicit-def: $vgpr25_vgpr26
	s_and_saveexec_b64 s[30:31], vcc
	s_xor_b64 s[30:31], exec, s[30:31]
	s_cbranch_execz .LBB0_234
; %bb.231:                              ;   in Loop: Header=BB0_185 Depth=1
	v_cmp_ngt_f64_e32 vcc, 0, v[21:22]
	v_mov_b32_e32 v25, 0
	v_mov_b32_e32 v26, 0x7ff00000
	s_mov_b64 s[8:9], 0
	s_and_saveexec_b64 s[34:35], vcc
	s_cbranch_execz .LBB0_233
; %bb.232:                              ;   in Loop: Header=BB0_185 Depth=1
	v_div_scale_f64 v[23:24], s[36:37], v[15:16], v[15:16], v[21:22]
	v_div_scale_f64 v[29:30], vcc, v[21:22], v[15:16], v[21:22]
	s_mov_b64 s[8:9], exec
	v_rcp_f64_e32 v[25:26], v[23:24]
	v_fma_f64 v[27:28], -v[23:24], v[25:26], 1.0
	v_fma_f64 v[25:26], v[25:26], v[27:28], v[25:26]
	v_fma_f64 v[27:28], -v[23:24], v[25:26], 1.0
	v_fma_f64 v[25:26], v[25:26], v[27:28], v[25:26]
	v_mul_f64 v[27:28], v[29:30], v[25:26]
	v_fma_f64 v[23:24], -v[23:24], v[27:28], v[29:30]
	v_div_fmas_f64 v[23:24], v[23:24], v[25:26], v[27:28]
	v_div_fixup_f64 v[25:26], v[23:24], v[15:16], v[21:22]
.LBB0_233:                              ;   in Loop: Header=BB0_185 Depth=1
	s_or_b64 exec, exec, s[34:35]
.LBB0_234:                              ;   in Loop: Header=BB0_185 Depth=1
	s_andn2_saveexec_b64 s[30:31], s[30:31]
	s_cbranch_execz .LBB0_236
; %bb.235:                              ;   in Loop: Header=BB0_185 Depth=1
	v_div_scale_f64 v[23:24], s[34:35], v[19:20], v[19:20], v[17:18]
	v_div_scale_f64 v[29:30], vcc, v[17:18], v[19:20], v[17:18]
	s_or_b64 s[8:9], s[8:9], exec
	v_rcp_f64_e32 v[25:26], v[23:24]
	v_fma_f64 v[27:28], -v[23:24], v[25:26], 1.0
	v_fma_f64 v[25:26], v[25:26], v[27:28], v[25:26]
	v_fma_f64 v[27:28], -v[23:24], v[25:26], 1.0
	v_fma_f64 v[25:26], v[25:26], v[27:28], v[25:26]
	v_mul_f64 v[27:28], v[29:30], v[25:26]
	v_fma_f64 v[23:24], -v[23:24], v[27:28], v[29:30]
	v_div_fmas_f64 v[23:24], v[23:24], v[25:26], v[27:28]
	v_div_fixup_f64 v[25:26], v[23:24], v[19:20], v[17:18]
.LBB0_236:                              ;   in Loop: Header=BB0_185 Depth=1
	s_or_b64 exec, exec, s[30:31]
	v_mov_b32_e32 v23, 0
	v_mov_b32_e32 v24, 0xfff00000
	s_and_b64 s[30:31], s[8:9], exec
.LBB0_237:                              ;   in Loop: Header=BB0_185 Depth=1
	s_or_b64 exec, exec, s[28:29]
	s_and_b64 s[28:29], s[30:31], exec
.LBB0_238:                              ;   in Loop: Header=BB0_185 Depth=1
	s_or_b64 exec, exec, s[6:7]
	s_and_b64 s[8:9], s[28:29], exec
.LBB0_239:                              ;   in Loop: Header=BB0_185 Depth=1
	s_or_b64 exec, exec, s[26:27]
.LBB0_240:                              ;   in Loop: Header=BB0_185 Depth=1
	s_andn2_saveexec_b64 s[24:25], s[24:25]
	s_cbranch_execz .LBB0_246
; %bb.241:                              ;   in Loop: Header=BB0_185 Depth=1
	v_cmp_gt_f64_e32 vcc, 0, v[19:20]
	v_cmp_ngt_f64_e64 s[6:7], 0, v[17:18]
	v_mov_b32_e32 v26, v20
	v_mov_b32_e32 v24, v16
	;; [unrolled: 1-line block ×4, first 2 shown]
	s_and_saveexec_b64 s[26:27], s[6:7]
	s_cbranch_execz .LBB0_245
; %bb.242:                              ;   in Loop: Header=BB0_185 Depth=1
	v_cmp_gt_f64_e64 s[6:7], 0, v[21:22]
	v_mov_b32_e32 v24, v20
	v_mov_b32_e32 v26, v16
	;; [unrolled: 1-line block ×4, first 2 shown]
	s_and_saveexec_b64 s[28:29], s[6:7]
; %bb.243:                              ;   in Loop: Header=BB0_185 Depth=1
	v_cndmask_b32_e32 v24, v16, v20, vcc
	v_cndmask_b32_e32 v23, v15, v19, vcc
	v_mov_b32_e32 v26, v24
	v_mov_b32_e32 v25, v23
; %bb.244:                              ;   in Loop: Header=BB0_185 Depth=1
	s_or_b64 exec, exec, s[28:29]
.LBB0_245:                              ;   in Loop: Header=BB0_185 Depth=1
	s_or_b64 exec, exec, s[26:27]
	v_cndmask_b32_e32 v30, v22, v18, vcc
	v_cndmask_b32_e32 v29, v21, v17, vcc
	v_div_scale_f64 v[37:38], s[6:7], v[23:24], v[23:24], v[29:30]
	v_cndmask_b32_e32 v28, v18, v22, vcc
	v_cndmask_b32_e32 v27, v17, v21, vcc
	s_andn2_b64 s[8:9], s[8:9], exec
	v_rcp_f64_e32 v[39:40], v[37:38]
	v_fma_f64 v[41:42], -v[37:38], v[39:40], 1.0
	v_fma_f64 v[39:40], v[39:40], v[41:42], v[39:40]
	v_fma_f64 v[41:42], -v[37:38], v[39:40], 1.0
	v_fma_f64 v[39:40], v[39:40], v[41:42], v[39:40]
	v_div_scale_f64 v[41:42], vcc, v[29:30], v[23:24], v[29:30]
	v_mul_f64 v[43:44], v[41:42], v[39:40]
	v_fma_f64 v[37:38], -v[37:38], v[43:44], v[41:42]
	s_nop 1
	v_div_fmas_f64 v[37:38], v[37:38], v[39:40], v[43:44]
	v_div_fixup_f64 v[23:24], v[37:38], v[23:24], v[29:30]
	v_div_scale_f64 v[29:30], s[6:7], v[25:26], v[25:26], v[27:28]
	v_rcp_f64_e32 v[37:38], v[29:30]
	v_fma_f64 v[39:40], -v[29:30], v[37:38], 1.0
	v_fma_f64 v[37:38], v[37:38], v[39:40], v[37:38]
	v_fma_f64 v[39:40], -v[29:30], v[37:38], 1.0
	v_fma_f64 v[37:38], v[37:38], v[39:40], v[37:38]
	v_div_scale_f64 v[39:40], vcc, v[27:28], v[25:26], v[27:28]
	v_mul_f64 v[41:42], v[39:40], v[37:38]
	v_fma_f64 v[29:30], -v[29:30], v[41:42], v[39:40]
	s_nop 1
	v_div_fmas_f64 v[29:30], v[29:30], v[37:38], v[41:42]
	v_div_fixup_f64 v[25:26], v[29:30], v[25:26], v[27:28]
.LBB0_246:                              ;   in Loop: Header=BB0_185 Depth=1
	s_or_b64 exec, exec, s[24:25]
	v_mov_b32_e32 v29, 0
	v_mov_b32_e32 v27, 0
	;; [unrolled: 1-line block ×4, first 2 shown]
	s_and_saveexec_b64 s[6:7], s[8:9]
	s_cbranch_execz .LBB0_252
; %bb.247:                              ;   in Loop: Header=BB0_185 Depth=1
	v_cmp_ngt_f64_e32 vcc, 0, v[17:18]
                                        ; implicit-def: $vgpr27_vgpr28
	s_and_saveexec_b64 s[24:25], vcc
	s_xor_b64 s[24:25], exec, s[24:25]
	s_cbranch_execz .LBB0_249
; %bb.248:                              ;   in Loop: Header=BB0_185 Depth=1
	v_div_scale_f64 v[15:16], s[26:27], v[19:20], v[19:20], v[21:22]
	v_div_scale_f64 v[29:30], vcc, v[21:22], v[19:20], v[21:22]
	v_rcp_f64_e32 v[17:18], v[15:16]
	v_fma_f64 v[27:28], -v[15:16], v[17:18], 1.0
	v_fma_f64 v[17:18], v[17:18], v[27:28], v[17:18]
	v_fma_f64 v[27:28], -v[15:16], v[17:18], 1.0
	v_fma_f64 v[17:18], v[17:18], v[27:28], v[17:18]
	v_mul_f64 v[27:28], v[29:30], v[17:18]
	v_fma_f64 v[15:16], -v[15:16], v[27:28], v[29:30]
	v_div_fmas_f64 v[15:16], v[15:16], v[17:18], v[27:28]
                                        ; implicit-def: $vgpr17_vgpr18
	v_div_fixup_f64 v[27:28], v[15:16], v[19:20], v[21:22]
                                        ; implicit-def: $vgpr15_vgpr16
.LBB0_249:                              ;   in Loop: Header=BB0_185 Depth=1
	s_andn2_saveexec_b64 s[24:25], s[24:25]
	s_cbranch_execz .LBB0_251
; %bb.250:                              ;   in Loop: Header=BB0_185 Depth=1
	v_div_scale_f64 v[19:20], s[26:27], v[15:16], v[15:16], v[17:18]
	v_div_scale_f64 v[29:30], vcc, v[17:18], v[15:16], v[17:18]
	v_rcp_f64_e32 v[21:22], v[19:20]
	v_fma_f64 v[27:28], -v[19:20], v[21:22], 1.0
	v_fma_f64 v[21:22], v[21:22], v[27:28], v[21:22]
	v_fma_f64 v[27:28], -v[19:20], v[21:22], 1.0
	v_fma_f64 v[21:22], v[21:22], v[27:28], v[21:22]
	v_mul_f64 v[27:28], v[29:30], v[21:22]
	v_fma_f64 v[19:20], -v[19:20], v[27:28], v[29:30]
	v_div_fmas_f64 v[19:20], v[19:20], v[21:22], v[27:28]
	v_div_fixup_f64 v[27:28], v[19:20], v[15:16], v[17:18]
.LBB0_251:                              ;   in Loop: Header=BB0_185 Depth=1
	s_or_b64 exec, exec, s[24:25]
	v_add_f64 v[15:16], v[11:12], s[18:19]
	v_add_f64 v[17:18], v[11:12], -v[27:28]
	v_max_f64 v[19:20], v[0:1], v[0:1]
	v_max_f64 v[21:22], v[2:3], v[2:3]
	;; [unrolled: 1-line block ×3, first 2 shown]
	v_min_f64 v[17:18], v[17:18], v[21:22]
	v_cmp_nle_f64_e32 vcc, v[15:16], v[17:18]
	v_cndmask_b32_e32 v28, v16, v33, vcc
	v_cndmask_b32_e64 v27, v15, 0, vcc
	v_cndmask_b32_e32 v30, v18, v33, vcc
	v_cndmask_b32_e64 v29, v17, 0, vcc
.LBB0_252:                              ;   in Loop: Header=BB0_185 Depth=1
	s_or_b64 exec, exec, s[6:7]
	v_add_f64 v[15:16], v[11:12], -v[25:26]
	v_add_f64 v[17:18], v[11:12], -v[23:24]
	v_max_f64 v[19:20], v[0:1], v[0:1]
	v_max_f64 v[21:22], v[2:3], v[2:3]
	;; [unrolled: 1-line block ×3, first 2 shown]
	v_min_f64 v[17:18], v[17:18], v[21:22]
	v_mul_f64 v[19:20], v[13:14], s[20:21]
	v_cmp_nle_f64_e32 vcc, v[15:16], v[17:18]
	v_cndmask_b32_e64 v20, v20, 0, s[4:5]
	v_cndmask_b32_e64 v19, v19, 0, s[4:5]
	v_cndmask_b32_e32 v14, v16, v33, vcc
	v_cndmask_b32_e64 v13, v15, 0, vcc
	v_cndmask_b32_e32 v16, v18, v33, vcc
	v_cndmask_b32_e64 v15, v17, 0, vcc
	v_add_f64 v[17:18], v[13:14], v[15:16]
	v_add_f64 v[21:22], v[15:16], -v[13:14]
	v_cmp_o_f64_e32 vcc, v[17:18], v[17:18]
	v_cmp_gt_f64_e64 s[4:5], v[21:22], v[19:20]
	s_and_b64 s[6:7], vcc, s[4:5]
	s_xor_b64 s[4:5], s[6:7], -1
	s_and_saveexec_b64 s[24:25], s[4:5]
	s_cbranch_execnz .LBB0_258
; %bb.253:                              ;   in Loop: Header=BB0_185 Depth=1
	s_or_b64 exec, exec, s[24:25]
	s_and_saveexec_b64 s[4:5], s[6:7]
	s_cbranch_execnz .LBB0_259
.LBB0_254:                              ;   in Loop: Header=BB0_185 Depth=1
	s_or_b64 exec, exec, s[4:5]
	v_cmp_o_f64_e32 vcc, v[17:18], v[17:18]
	s_and_saveexec_b64 s[4:5], vcc
	s_cbranch_execz .LBB0_256
.LBB0_255:                              ;   in Loop: Header=BB0_185 Depth=1
	v_mov_b32_e32 v10, v35
	buffer_store_dword v14, v36, s[0:3], 0 offen offset:4
	buffer_store_dword v13, v36, s[0:3], 0 offen
	buffer_store_dword v16, v36, s[0:3], 0 offen offset:12
	buffer_store_dword v15, v36, s[0:3], 0 offen offset:8
.LBB0_256:                              ;   in Loop: Header=BB0_185 Depth=1
	s_or_b64 exec, exec, s[4:5]
	v_add_f64 v[0:1], v[27:28], v[29:30]
	v_cmp_o_f64_e32 vcc, v[0:1], v[0:1]
	s_and_b64 s[6:7], vcc, s[8:9]
	s_and_saveexec_b64 s[4:5], s[6:7]
	s_cbranch_execz .LBB0_183
; %bb.257:                              ;   in Loop: Header=BB0_185 Depth=1
	v_add_u32_e32 v0, 1, v10
	v_lshl_add_u32 v1, v10, 4, v32
	v_mov_b32_e32 v10, v0
	buffer_store_dword v28, v1, s[0:3], 0 offen offset:20
	buffer_store_dword v27, v1, s[0:3], 0 offen offset:16
	;; [unrolled: 1-line block ×4, first 2 shown]
	s_branch .LBB0_183
.LBB0_258:                              ;   in Loop: Header=BB0_185 Depth=1
	v_add_f64 v[21:22], v[27:28], v[29:30]
	v_add_f64 v[23:24], v[29:30], -v[27:28]
	s_andn2_b64 s[6:7], s[6:7], exec
	v_cmp_o_f64_e32 vcc, v[21:22], v[21:22]
	v_cmp_gt_f64_e64 s[4:5], v[23:24], v[19:20]
	s_and_b64 s[4:5], vcc, s[4:5]
	s_and_b64 s[4:5], s[4:5], exec
	s_or_b64 s[6:7], s[6:7], s[4:5]
	s_or_b64 exec, exec, s[24:25]
	s_and_saveexec_b64 s[4:5], s[6:7]
	s_cbranch_execz .LBB0_254
.LBB0_259:                              ;   in Loop: Header=BB0_185 Depth=1
	v_add_f64 v[17:18], v[0:1], v[11:12]
	v_mov_b32_e32 v28, v12
	v_mov_b32_e32 v30, v3
	;; [unrolled: 1-line block ×4, first 2 shown]
	s_or_b64 s[8:9], s[8:9], exec
	v_mov_b32_e32 v27, v11
	v_mov_b32_e32 v29, v2
	;; [unrolled: 1-line block ×4, first 2 shown]
	s_or_b64 exec, exec, s[4:5]
	v_cmp_o_f64_e32 vcc, v[17:18], v[17:18]
	s_and_saveexec_b64 s[4:5], vcc
	s_cbranch_execnz .LBB0_255
	s_branch .LBB0_256
.LBB0_260:
	s_or_b64 exec, exec, s[10:11]
.LBB0_261:
	s_waitcnt vmcnt(3)
	v_ashrrev_i32_e32 v0, 31, v31
	v_add_u32_sdwa v0, v31, v0 dst_sel:DWORD dst_unused:UNUSED_PAD src0_sel:DWORD src1_sel:WORD_1
	v_ashrrev_i32_e32 v9, 31, v8
	s_waitcnt vmcnt(1)
	v_ashrrev_i32_e32 v2, 16, v0
	v_lshlrev_b64 v[0:1], 2, v[8:9]
	s_waitcnt vmcnt(0)
	v_mov_b32_e32 v3, s15
	v_add_co_u32_e32 v0, vcc, s14, v0
	v_addc_co_u32_e32 v1, vcc, v3, v1, vcc
	global_store_dword v[0:1], v2, off
	s_endpgm
	.section	.rodata,"a",@progbits
	.p2align	6, 0x0
	.amdhsa_kernel _Z20test_interval_newtonIdEvP12interval_gpuIT_EPiS2_i
		.amdhsa_group_segment_fixed_size 0
		.amdhsa_private_segment_fixed_size 2064
		.amdhsa_kernarg_size 36
		.amdhsa_user_sgpr_count 6
		.amdhsa_user_sgpr_private_segment_buffer 1
		.amdhsa_user_sgpr_dispatch_ptr 0
		.amdhsa_user_sgpr_queue_ptr 0
		.amdhsa_user_sgpr_kernarg_segment_ptr 1
		.amdhsa_user_sgpr_dispatch_id 0
		.amdhsa_user_sgpr_flat_scratch_init 0
		.amdhsa_user_sgpr_private_segment_size 0
		.amdhsa_uses_dynamic_stack 0
		.amdhsa_system_sgpr_private_segment_wavefront_offset 1
		.amdhsa_system_sgpr_workgroup_id_x 1
		.amdhsa_system_sgpr_workgroup_id_y 0
		.amdhsa_system_sgpr_workgroup_id_z 0
		.amdhsa_system_sgpr_workgroup_info 0
		.amdhsa_system_vgpr_workitem_id 0
		.amdhsa_next_free_vgpr 46
		.amdhsa_next_free_sgpr 48
		.amdhsa_reserve_vcc 1
		.amdhsa_reserve_flat_scratch 0
		.amdhsa_float_round_mode_32 0
		.amdhsa_float_round_mode_16_64 0
		.amdhsa_float_denorm_mode_32 3
		.amdhsa_float_denorm_mode_16_64 3
		.amdhsa_dx10_clamp 1
		.amdhsa_ieee_mode 1
		.amdhsa_fp16_overflow 0
		.amdhsa_exception_fp_ieee_invalid_op 0
		.amdhsa_exception_fp_denorm_src 0
		.amdhsa_exception_fp_ieee_div_zero 0
		.amdhsa_exception_fp_ieee_overflow 0
		.amdhsa_exception_fp_ieee_underflow 0
		.amdhsa_exception_fp_ieee_inexact 0
		.amdhsa_exception_int_div_zero 0
	.end_amdhsa_kernel
	.section	.text._Z20test_interval_newtonIdEvP12interval_gpuIT_EPiS2_i,"axG",@progbits,_Z20test_interval_newtonIdEvP12interval_gpuIT_EPiS2_i,comdat
.Lfunc_end0:
	.size	_Z20test_interval_newtonIdEvP12interval_gpuIT_EPiS2_i, .Lfunc_end0-_Z20test_interval_newtonIdEvP12interval_gpuIT_EPiS2_i
                                        ; -- End function
	.set _Z20test_interval_newtonIdEvP12interval_gpuIT_EPiS2_i.num_vgpr, 46
	.set _Z20test_interval_newtonIdEvP12interval_gpuIT_EPiS2_i.num_agpr, 0
	.set _Z20test_interval_newtonIdEvP12interval_gpuIT_EPiS2_i.numbered_sgpr, 48
	.set _Z20test_interval_newtonIdEvP12interval_gpuIT_EPiS2_i.num_named_barrier, 0
	.set _Z20test_interval_newtonIdEvP12interval_gpuIT_EPiS2_i.private_seg_size, 2064
	.set _Z20test_interval_newtonIdEvP12interval_gpuIT_EPiS2_i.uses_vcc, 1
	.set _Z20test_interval_newtonIdEvP12interval_gpuIT_EPiS2_i.uses_flat_scratch, 0
	.set _Z20test_interval_newtonIdEvP12interval_gpuIT_EPiS2_i.has_dyn_sized_stack, 0
	.set _Z20test_interval_newtonIdEvP12interval_gpuIT_EPiS2_i.has_recursion, 0
	.set _Z20test_interval_newtonIdEvP12interval_gpuIT_EPiS2_i.has_indirect_call, 0
	.section	.AMDGPU.csdata,"",@progbits
; Kernel info:
; codeLenInByte = 9112
; TotalNumSgprs: 52
; NumVgprs: 46
; ScratchSize: 2064
; MemoryBound: 0
; FloatMode: 240
; IeeeMode: 1
; LDSByteSize: 0 bytes/workgroup (compile time only)
; SGPRBlocks: 6
; VGPRBlocks: 11
; NumSGPRsForWavesPerEU: 52
; NumVGPRsForWavesPerEU: 46
; Occupancy: 5
; WaveLimiterHint : 0
; COMPUTE_PGM_RSRC2:SCRATCH_EN: 1
; COMPUTE_PGM_RSRC2:USER_SGPR: 6
; COMPUTE_PGM_RSRC2:TRAP_HANDLER: 0
; COMPUTE_PGM_RSRC2:TGID_X_EN: 1
; COMPUTE_PGM_RSRC2:TGID_Y_EN: 0
; COMPUTE_PGM_RSRC2:TGID_Z_EN: 0
; COMPUTE_PGM_RSRC2:TIDIG_COMP_CNT: 0
	.section	.AMDGPU.gpr_maximums,"",@progbits
	.set amdgpu.max_num_vgpr, 0
	.set amdgpu.max_num_agpr, 0
	.set amdgpu.max_num_sgpr, 0
	.section	.AMDGPU.csdata,"",@progbits
	.type	__hip_cuid_477447f75fad7d7c,@object ; @__hip_cuid_477447f75fad7d7c
	.section	.bss,"aw",@nobits
	.globl	__hip_cuid_477447f75fad7d7c
__hip_cuid_477447f75fad7d7c:
	.byte	0                               ; 0x0
	.size	__hip_cuid_477447f75fad7d7c, 1

	.ident	"AMD clang version 22.0.0git (https://github.com/RadeonOpenCompute/llvm-project roc-7.2.4 26084 f58b06dce1f9c15707c5f808fd002e18c2accf7e)"
	.section	".note.GNU-stack","",@progbits
	.addrsig
	.addrsig_sym __hip_cuid_477447f75fad7d7c
	.amdgpu_metadata
---
amdhsa.kernels:
  - .args:
      - .address_space:  global
        .offset:         0
        .size:           8
        .value_kind:     global_buffer
      - .address_space:  global
        .offset:         8
        .size:           8
        .value_kind:     global_buffer
      - .offset:         16
        .size:           16
        .value_kind:     by_value
      - .offset:         32
        .size:           4
        .value_kind:     by_value
    .group_segment_fixed_size: 0
    .kernarg_segment_align: 8
    .kernarg_segment_size: 36
    .language:       OpenCL C
    .language_version:
      - 2
      - 0
    .max_flat_workgroup_size: 1024
    .name:           _Z20test_interval_newtonIdEvP12interval_gpuIT_EPiS2_i
    .private_segment_fixed_size: 2064
    .sgpr_count:     52
    .sgpr_spill_count: 0
    .symbol:         _Z20test_interval_newtonIdEvP12interval_gpuIT_EPiS2_i.kd
    .uniform_work_group_size: 1
    .uses_dynamic_stack: false
    .vgpr_count:     46
    .vgpr_spill_count: 0
    .wavefront_size: 64
amdhsa.target:   amdgcn-amd-amdhsa--gfx906
amdhsa.version:
  - 1
  - 2
...

	.end_amdgpu_metadata
